;; amdgpu-corpus repo=zjin-lcf/HeCBench kind=compiled arch=gfx1250 opt=O3
	.amdgcn_target "amdgcn-amd-amdhsa--gfx1250"
	.amdhsa_code_object_version 6
	.section	.text._Z6kernelIfLi1ELi16ELi96ELi3ELi4ELi16EEvT_S0_iiPKS0_S2_PS0_S3_,"axG",@progbits,_Z6kernelIfLi1ELi16ELi96ELi3ELi4ELi16EEvT_S0_iiPKS0_S2_PS0_S3_,comdat
	.protected	_Z6kernelIfLi1ELi16ELi96ELi3ELi4ELi16EEvT_S0_iiPKS0_S2_PS0_S3_ ; -- Begin function _Z6kernelIfLi1ELi16ELi96ELi3ELi4ELi16EEvT_S0_iiPKS0_S2_PS0_S3_
	.globl	_Z6kernelIfLi1ELi16ELi96ELi3ELi4ELi16EEvT_S0_iiPKS0_S2_PS0_S3_
	.p2align	8
	.type	_Z6kernelIfLi1ELi16ELi96ELi3ELi4ELi16EEvT_S0_iiPKS0_S2_PS0_S3_,@function
_Z6kernelIfLi1ELi16ELi96ELi3ELi4ELi16EEvT_S0_iiPKS0_S2_PS0_S3_: ; @_Z6kernelIfLi1ELi16ELi96ELi3ELi4ELi16EEvT_S0_iiPKS0_S2_PS0_S3_
; %bb.0:
	s_bfe_u32 s2, ttmp6, 0x4000c
	s_bfe_u32 s4, ttmp6, 0x40010
	s_add_co_i32 s2, s2, 1
	s_and_b32 s3, ttmp6, 15
	s_mul_i32 s2, ttmp9, s2
	s_add_co_i32 s4, s4, 1
	s_add_co_i32 s3, s3, s2
	s_mul_i32 s2, ttmp7, s4
	s_bfe_u32 s4, ttmp6, 0x40004
	s_getreg_b32 s5, hwreg(HW_REG_IB_STS2, 6, 4)
	v_and_b32_e32 v19, 0x3ff, v0
	s_add_co_i32 s4, s4, s2
	s_cmp_eq_u32 s5, 0
	s_clause 0x1
	s_load_b128 s[16:19], s[0:1], 0x0
	s_load_b128 s[12:15], s[0:1], 0x20
	s_cselect_b32 s2, ttmp9, s3
	v_bfe_u32 v11, v0, 10, 10
	v_mad_u32 v23, s2, 10, v19
	s_cselect_b32 s8, ttmp7, s4
	v_lshlrev_b32_e32 v7, 2, v19
	s_mulk_i32 s8, 0x58
	s_delay_alu instid0(SALU_CYCLE_1) | instskip(NEXT) | instid1(VALU_DEP_3)
	v_add_nc_u32_e32 v15, s8, v11
	v_add_nc_u32_e32 v42, -3, v23
	s_delay_alu instid0(VALU_DEP_1) | instskip(SKIP_3) | instid1(SALU_CYCLE_1)
	v_cmp_lt_i32_e64 s3, -1, v42
	s_wait_kmcnt 0x0
	v_cmp_gt_i32_e64 s2, s18, v42
	s_and_b32 s4, s3, s2
	s_and_saveexec_b32 s9, s4
	s_cbranch_execz .LBB0_13
; %bb.1:
	s_load_b128 s[4:7], s[0:1], 0x10
	v_add_nc_u32_e32 v0, -4, v15
	s_delay_alu instid0(VALU_DEP_1)
	v_mad_u32 v1, s18, v0, v42
	v_cmp_lt_i32_e32 vcc_lo, -1, v0
	s_wait_xcnt 0x0
	v_cmp_gt_i32_e64 s0, s19, v0
	v_add_nc_u32_e32 v0, 0x1800, v7
	s_and_b32 s1, vcc_lo, s0
	s_delay_alu instid0(SALU_CYCLE_1)
	s_and_saveexec_b32 s0, s1
	s_cbranch_execz .LBB0_3
; %bb.2:
	s_wait_kmcnt 0x0
	s_clause 0x1
	global_load_b32 v2, v1, s[4:5] scale_offset
	global_load_b32 v3, v1, s[6:7] scale_offset
	v_lshlrev_b32_e32 v4, 6, v11
	s_delay_alu instid0(VALU_DEP_1)
	v_dual_add_nc_u32 v5, v0, v4 :: v_dual_add_nc_u32 v4, v7, v4
	s_wait_loadcnt 0x1
	ds_store_b32 v5, v2
	s_wait_loadcnt 0x0
	ds_store_b32 v4, v3
.LBB0_3:
	s_or_b32 exec_lo, exec_lo, s0
	s_lshl_b32 s1, s18, 4
	s_delay_alu instid0(SALU_CYCLE_1) | instskip(NEXT) | instid1(VALU_DEP_1)
	v_dual_add_nc_u32 v2, 12, v15 :: v_dual_add_nc_u32 v1, s1, v1
	v_cmp_lt_i32_e32 vcc_lo, -1, v2
	v_cmp_gt_i32_e64 s0, s19, v2
	s_and_b32 s10, vcc_lo, s0
	s_delay_alu instid0(SALU_CYCLE_1)
	s_and_saveexec_b32 s0, s10
	s_cbranch_execz .LBB0_5
; %bb.4:
	s_wait_kmcnt 0x0
	s_clause 0x1
	global_load_b32 v2, v1, s[4:5] scale_offset
	global_load_b32 v3, v1, s[6:7] scale_offset
	v_lshlrev_b32_e32 v4, 6, v11
	s_delay_alu instid0(VALU_DEP_1)
	v_dual_add_nc_u32 v5, v0, v4 :: v_dual_add_nc_u32 v4, v7, v4
	s_wait_loadcnt 0x1
	ds_store_b32 v5, v2 offset:1024
	s_wait_loadcnt 0x0
	ds_store_b32 v4, v3 offset:1024
.LBB0_5:
	s_or_b32 exec_lo, exec_lo, s0
	v_dual_add_nc_u32 v2, 28, v15 :: v_dual_add_nc_u32 v1, s1, v1
	s_delay_alu instid0(VALU_DEP_1) | instskip(SKIP_2) | instid1(SALU_CYCLE_1)
	v_cmp_lt_i32_e32 vcc_lo, -1, v2
	v_cmp_gt_i32_e64 s0, s19, v2
	s_and_b32 s10, vcc_lo, s0
	s_and_saveexec_b32 s0, s10
	s_cbranch_execz .LBB0_7
; %bb.6:
	s_wait_kmcnt 0x0
	s_clause 0x1
	global_load_b32 v2, v1, s[4:5] scale_offset
	global_load_b32 v3, v1, s[6:7] scale_offset
	v_lshlrev_b32_e32 v4, 6, v11
	s_delay_alu instid0(VALU_DEP_1)
	v_dual_add_nc_u32 v5, v0, v4 :: v_dual_add_nc_u32 v4, v7, v4
	s_wait_loadcnt 0x1
	ds_store_b32 v5, v2 offset:2048
	s_wait_loadcnt 0x0
	ds_store_b32 v4, v3 offset:2048
.LBB0_7:
	s_or_b32 exec_lo, exec_lo, s0
	v_dual_add_nc_u32 v2, 44, v15 :: v_dual_add_nc_u32 v1, s1, v1
	s_delay_alu instid0(VALU_DEP_1) | instskip(SKIP_2) | instid1(SALU_CYCLE_1)
	v_cmp_lt_i32_e32 vcc_lo, -1, v2
	v_cmp_gt_i32_e64 s0, s19, v2
	s_and_b32 s10, vcc_lo, s0
	s_and_saveexec_b32 s0, s10
	s_cbranch_execz .LBB0_9
; %bb.8:
	s_wait_kmcnt 0x0
	s_clause 0x1
	global_load_b32 v2, v1, s[4:5] scale_offset
	global_load_b32 v3, v1, s[6:7] scale_offset
	v_lshlrev_b32_e32 v4, 6, v11
	s_delay_alu instid0(VALU_DEP_1)
	v_dual_add_nc_u32 v5, v0, v4 :: v_dual_add_nc_u32 v4, v7, v4
	s_wait_loadcnt 0x1
	ds_store_b32 v5, v2 offset:3072
	s_wait_loadcnt 0x0
	ds_store_b32 v4, v3 offset:3072
.LBB0_9:
	s_or_b32 exec_lo, exec_lo, s0
	v_dual_add_nc_u32 v2, 60, v15 :: v_dual_add_nc_u32 v1, s1, v1
	s_delay_alu instid0(VALU_DEP_1) | instskip(SKIP_2) | instid1(SALU_CYCLE_1)
	v_cmp_lt_i32_e32 vcc_lo, -1, v2
	v_cmp_gt_i32_e64 s0, s19, v2
	s_and_b32 s10, vcc_lo, s0
	s_and_saveexec_b32 s0, s10
	s_cbranch_execz .LBB0_11
; %bb.10:
	s_wait_kmcnt 0x0
	s_clause 0x1
	global_load_b32 v2, v1, s[4:5] scale_offset
	global_load_b32 v3, v1, s[6:7] scale_offset
	v_lshlrev_b32_e32 v4, 6, v11
	s_delay_alu instid0(VALU_DEP_1)
	v_dual_add_nc_u32 v5, v0, v4 :: v_dual_add_nc_u32 v4, v7, v4
	s_wait_loadcnt 0x1
	ds_store_b32 v5, v2 offset:4096
	s_wait_loadcnt 0x0
	ds_store_b32 v4, v3 offset:4096
.LBB0_11:
	s_or_b32 exec_lo, exec_lo, s0
	v_add_nc_u32_e32 v2, 0x4c, v15
	s_delay_alu instid0(VALU_DEP_1) | instskip(SKIP_2) | instid1(SALU_CYCLE_1)
	v_cmp_lt_i32_e32 vcc_lo, -1, v2
	v_cmp_gt_i32_e64 s0, s19, v2
	s_and_b32 s0, vcc_lo, s0
	s_and_b32 exec_lo, exec_lo, s0
	s_cbranch_execz .LBB0_13
; %bb.12:
	v_add_nc_u32_e32 v1, s1, v1
	s_wait_kmcnt 0x0
	s_clause 0x1
	global_load_b32 v2, v1, s[4:5] scale_offset
	global_load_b32 v3, v1, s[6:7] scale_offset
	s_wait_xcnt 0x0
	v_lshlrev_b32_e32 v1, 6, v11
	s_delay_alu instid0(VALU_DEP_1)
	v_dual_add_nc_u32 v0, v0, v1 :: v_dual_add_nc_u32 v1, v7, v1
	s_wait_loadcnt 0x1
	ds_store_b32 v0, v2 offset:5120
	s_wait_loadcnt 0x0
	ds_store_b32 v1, v3 offset:5120
.LBB0_13:
	s_or_b32 exec_lo, exec_lo, s9
	v_lshlrev_b32_e32 v4, 1, v11
	v_add_nc_u32_e32 v27, 0x1800, v7
	v_and_b32_e32 v5, 1, v19
	s_wait_dscnt 0x0
	s_barrier_signal -1
	s_barrier_wait -1
	s_delay_alu instid0(VALU_DEP_1) | instskip(SKIP_1) | instid1(VALU_DEP_1)
	v_sub_nc_u32_e32 v41, v4, v5
	s_add_co_i32 s9, s19, -1
	v_dual_lshlrev_b32 v40, 6, v41 :: v_dual_bitop2_b32 v4, 1, v4 bitop3:0x54
	s_delay_alu instid0(VALU_DEP_1) | instskip(NEXT) | instid1(VALU_DEP_2)
	v_add_nc_u32_e32 v31, v27, v40
	v_dual_add_nc_u32 v35, v7, v40 :: v_dual_sub_nc_u32 v36, v4, v5
	s_delay_alu instid0(VALU_DEP_2) | instskip(NEXT) | instid1(VALU_DEP_2)
	v_add_nc_u32_e32 v0, 64, v31
	v_add_nc_u32_e32 v2, 64, v35
	ds_load_2addr_stride64_b32 v[0:1], v0 offset1:8
	ds_load_2addr_stride64_b32 v[2:3], v2 offset1:8
	ds_load_b32 v6, v31 offset:4160
	ds_load_b32 v10, v35 offset:4160
	v_add3_u32 v37, s8, -4, v36
	s_delay_alu instid0(VALU_DEP_1)
	v_cmp_lt_i32_e32 vcc_lo, -1, v37
	s_wait_dscnt 0x2
	v_dual_mov_b32 v34, v4 :: v_dual_mov_b32 v33, v3
	v_dual_mov_b32 v22, v4 :: v_dual_mov_b32 v21, v3
	;; [unrolled: 1-line block ×9, first 2 shown]
	s_wait_dscnt 0x0
	v_dual_mov_b32 v18, v6 :: v_dual_mov_b32 v14, v10
	s_wait_kmcnt 0x0
	s_and_saveexec_b32 s4, vcc_lo
	s_cbranch_execz .LBB0_17
; %bb.14:
	v_cmp_gt_i32_e64 s0, s9, v37
	v_cmp_gt_u32_e64 s1, 0x5f, v36
	s_and_b32 s1, s1, s0
	s_delay_alu instid0(SALU_CYCLE_1)
	s_and_saveexec_b32 s0, s1
	s_cbranch_execz .LBB0_16
; %bb.15:
	ds_load_b32 v4, v31 offset:128
	ds_load_b32 v9, v35 offset:128
	v_mov_b64_e32 v[12:13], s[16:17]
	v_dual_mov_b32 v5, v2 :: v_dual_mov_b32 v16, s17
	v_dual_mov_b32 v17, s16 :: v_dual_mov_b32 v8, v0
	s_wait_dscnt 0x1
	v_dual_mov_b32 v20, v2 :: v_dual_mov_b32 v21, v4
	s_wait_dscnt 0x0
	v_dual_mul_f32 v2, s17, v4 :: v_dual_mul_f32 v0, s17, v9
	v_pk_mul_f32 v[24:25], v[12:13], v[4:5]
	v_pk_mul_f32 v[16:17], v[16:17], v[8:9]
	s_delay_alu instid0(VALU_DEP_3) | instskip(NEXT) | instid1(VALU_DEP_4)
	v_pk_fma_f32 v[4:5], v[12:13], v[8:9], v[0:1] op_sel_hi:[1,1,0] neg_lo:[0,0,1] neg_hi:[0,0,1]
	v_pk_fma_f32 v[8:9], v[12:13], v[20:21], v[2:3] op_sel_hi:[1,1,0]
	s_delay_alu instid0(VALU_DEP_4) | instskip(NEXT) | instid1(VALU_DEP_4)
	v_dual_sub_f32 v38, v24, v25 :: v_dual_mov_b32 v5, v1
	v_dual_add_f32 v39, v16, v17 :: v_dual_mov_b32 v9, v3
	v_dual_mov_b32 v26, v6 :: v_dual_mov_b32 v18, v6
	s_delay_alu instid0(VALU_DEP_3) | instskip(NEXT) | instid1(VALU_DEP_3)
	v_dual_mov_b32 v17, v5 :: v_dual_mov_b32 v34, v10
	v_dual_mov_b32 v33, v9 :: v_dual_mov_b32 v24, v4
	;; [unrolled: 1-line block ×9, first 2 shown]
	ds_store_b32 v31, v38 offset:128
	ds_store_b32 v35, v39 offset:128
.LBB0_16:
	s_or_b32 exec_lo, exec_lo, s0
.LBB0_17:
	s_delay_alu instid0(SALU_CYCLE_1)
	s_or_b32 exec_lo, exec_lo, s4
	v_add_nc_u32_e32 v38, 32, v37
	v_cmp_lt_i32_e64 s0, 0xffffffdf, v37
	s_and_saveexec_b32 s5, s0
	s_cbranch_execz .LBB0_21
; %bb.18:
	v_cmp_gt_i32_e64 s1, s9, v38
	v_cmp_gt_u32_e64 s4, 63, v36
	s_and_b32 s4, s4, s1
	s_delay_alu instid0(SALU_CYCLE_1)
	s_and_saveexec_b32 s1, s4
	s_cbranch_execz .LBB0_20
; %bb.19:
	ds_load_b32 v12, v31 offset:2176
	ds_load_b32 v5, v35 offset:2176
	v_mov_b64_e32 v[8:9], s[16:17]
	v_dual_mov_b32 v16, s17 :: v_dual_mov_b32 v4, v17
	v_dual_mul_f32 v14, s16, v17 :: v_dual_mov_b32 v32, v13
	v_dual_mul_f32 v18, s16, v13 :: v_dual_mov_b32 v17, s16
	v_dual_mov_b32 v30, v26 :: v_dual_mov_b32 v29, v25
	s_wait_dscnt 0x1
	v_dual_mov_b32 v28, v24 :: v_dual_mov_b32 v33, v12
	s_wait_dscnt 0x0
	v_pk_fma_f32 v[44:45], v[8:9], v[4:5], v[14:15] op_sel_hi:[1,1,0] neg_lo:[1,0,0] neg_hi:[1,0,0]
	v_pk_mul_f32 v[12:13], v[8:9], v[12:13]
	v_pk_mul_f32 v[4:5], v[16:17], v[4:5]
	v_pk_fma_f32 v[8:9], v[8:9], v[32:33], v[18:19] op_sel_hi:[1,1,0]
	v_dual_mov_b32 v34, v22 :: v_dual_mov_b32 v33, v21
	v_dual_mov_b32 v32, v20 :: v_dual_mov_b32 v29, v45
	s_delay_alu instid0(VALU_DEP_3) | instskip(SKIP_1) | instid1(VALU_DEP_3)
	v_dual_sub_f32 v8, v12, v13 :: v_dual_mov_b32 v33, v9
	v_dual_mov_b32 v16, v28 :: v_dual_mov_b32 v18, v30
	v_dual_mov_b32 v12, v32 :: v_dual_mov_b32 v14, v34
	v_dual_mov_b32 v3, v9 :: v_dual_add_f32 v4, v4, v5
	v_dual_mov_b32 v1, v45 :: v_dual_mov_b32 v17, v29
	v_dual_mov_b32 v18, v6 :: v_dual_mov_b32 v13, v33
	v_mov_b32_e32 v14, v10
	ds_store_b32 v31, v8 offset:2176
	ds_store_b32 v35, v4 offset:2176
.LBB0_20:
	s_or_b32 exec_lo, exec_lo, s1
.LBB0_21:
	s_delay_alu instid0(SALU_CYCLE_1)
	s_or_b32 exec_lo, exec_lo, s5
	v_add_nc_u32_e32 v39, 64, v37
	v_cmp_lt_i32_e64 s1, 0xffffffbf, v37
	s_and_saveexec_b32 s6, s1
	s_cbranch_execz .LBB0_25
; %bb.22:
	v_cmp_gt_i32_e64 s4, s9, v39
	v_cmp_gt_u32_e64 s5, 31, v36
	s_and_b32 s5, s5, s4
	s_delay_alu instid0(SALU_CYCLE_1)
	s_and_saveexec_b32 s4, s5
	s_cbranch_execz .LBB0_24
; %bb.23:
	ds_load_b32 v5, v35 offset:4224
	ds_load_b32 v8, v31 offset:4224
	v_mov_b64_e32 v[12:13], s[16:17]
	v_dual_mov_b32 v9, v14 :: v_dual_mov_b32 v44, s17
	v_dual_mov_b32 v45, s16 :: v_dual_mov_b32 v4, v18
	;; [unrolled: 1-line block ×4, first 2 shown]
	s_wait_dscnt 0x0
	v_dual_mul_f32 v6, s17, v5 :: v_dual_mov_b32 v47, v8
	v_mul_f32_e32 v10, s17, v8
	v_pk_mul_f32 v[8:9], v[12:13], v[8:9]
	v_pk_mul_f32 v[44:45], v[44:45], v[4:5]
	s_delay_alu instid0(VALU_DEP_4) | instskip(NEXT) | instid1(VALU_DEP_4)
	v_pk_fma_f32 v[4:5], v[12:13], v[4:5], v[6:7] op_sel_hi:[1,1,0] neg_lo:[0,0,1] neg_hi:[0,0,1]
	v_pk_fma_f32 v[46:47], v[12:13], v[46:47], v[10:11] op_sel_hi:[1,1,0]
	v_dual_mov_b32 v12, v32 :: v_dual_mov_b32 v13, v33
	v_dual_mov_b32 v14, v34 :: v_dual_sub_f32 v5, v8, v9
	s_delay_alu instid0(VALU_DEP_3)
	v_dual_mov_b32 v14, v46 :: v_dual_add_f32 v8, v44, v45
	v_dual_mov_b32 v10, v46 :: v_dual_mov_b32 v18, v4
	v_mov_b32_e32 v6, v4
	ds_store_b32 v31, v5 offset:4224
	ds_store_b32 v35, v8 offset:4224
.LBB0_24:
	s_or_b32 exec_lo, exec_lo, s4
.LBB0_25:
	s_delay_alu instid0(SALU_CYCLE_1)
	s_or_b32 exec_lo, exec_lo, s6
	s_add_co_i32 s4, s18, -1
	v_cmp_gt_u32_e64 s5, 15, v19
	v_cmp_gt_i32_e64 s4, s4, v42
	s_wait_dscnt 0x0
	s_barrier_signal -1
	s_barrier_wait -1
	s_and_b32 s3, s3, s4
	s_delay_alu instid0(SALU_CYCLE_1) | instskip(NEXT) | instid1(SALU_CYCLE_1)
	s_and_b32 s10, s3, s5
	s_and_saveexec_b32 s3, s10
	s_cbranch_execnz .LBB0_32
; %bb.26:
	s_or_b32 exec_lo, exec_lo, s3
	s_and_saveexec_b32 s3, s10
	s_cbranch_execnz .LBB0_33
.LBB0_27:
	s_or_b32 exec_lo, exec_lo, s3
	s_and_saveexec_b32 s3, s10
	s_cbranch_execz .LBB0_29
.LBB0_28:
	ds_load_b32 v5, v35 offset:4164
	ds_load_b32 v8, v31 offset:4164
	v_mov_b64_e32 v[12:13], s[16:17]
	v_dual_mov_b32 v9, v14 :: v_dual_mov_b32 v44, s17
	v_dual_mov_b32 v45, s16 :: v_dual_mov_b32 v4, v18
	v_dual_mov_b32 v46, v14 :: v_dual_mov_b32 v16, v28
	v_dual_mov_b32 v17, v29 :: v_dual_mov_b32 v18, v30
	s_wait_dscnt 0x0
	v_dual_mul_f32 v6, s17, v5 :: v_dual_mov_b32 v47, v8
	v_mul_f32_e32 v10, s17, v8
	v_pk_mul_f32 v[8:9], v[12:13], v[8:9]
	v_pk_mul_f32 v[44:45], v[44:45], v[4:5]
	s_delay_alu instid0(VALU_DEP_4) | instskip(NEXT) | instid1(VALU_DEP_4)
	v_pk_fma_f32 v[4:5], v[12:13], v[4:5], v[6:7] op_sel_hi:[1,1,0] neg_lo:[0,0,1] neg_hi:[0,0,1]
	v_pk_fma_f32 v[46:47], v[12:13], v[46:47], v[10:11] op_sel_hi:[1,1,0]
	v_dual_mov_b32 v12, v32 :: v_dual_mov_b32 v13, v33
	v_dual_mov_b32 v14, v34 :: v_dual_sub_f32 v5, v8, v9
	s_delay_alu instid0(VALU_DEP_3)
	v_dual_mov_b32 v14, v46 :: v_dual_add_f32 v8, v44, v45
	v_dual_mov_b32 v10, v46 :: v_dual_mov_b32 v18, v4
	v_mov_b32_e32 v6, v4
	ds_store_b32 v31, v5 offset:4164
	ds_store_b32 v35, v8 offset:4164
.LBB0_29:
	s_or_b32 exec_lo, exec_lo, s3
	v_add_nc_u32_e32 v43, -1, v36
	v_cmp_lt_i32_e64 s3, 0, v37
	s_wait_dscnt 0x0
	s_barrier_signal -1
	s_barrier_wait -1
	s_and_saveexec_b32 s6, s3
	s_cbranch_execnz .LBB0_34
; %bb.30:
	s_or_b32 exec_lo, exec_lo, s6
	v_cmp_lt_i32_e64 s4, 0xffffffe0, v37
	s_and_saveexec_b32 s7, s4
	s_cbranch_execnz .LBB0_37
.LBB0_31:
	s_or_b32 exec_lo, exec_lo, s7
	v_cmp_lt_i32_e64 s5, 0xffffffc0, v37
	s_and_saveexec_b32 s8, s5
	s_cbranch_execnz .LBB0_40
	s_branch .LBB0_43
.LBB0_32:
	ds_load_b32 v4, v31 offset:68
	ds_load_b32 v17, v35 offset:68
	v_mov_b64_e32 v[20:21], s[16:17]
	v_dual_mov_b32 v5, v12 :: v_dual_mov_b32 v8, s17
	s_wait_dscnt 0x1
	v_dual_mov_b32 v9, s16 :: v_dual_mov_b32 v13, v4
	s_delay_alu instid0(VALU_DEP_2) | instskip(SKIP_2) | instid1(VALU_DEP_3)
	v_pk_mul_f32 v[24:25], v[20:21], v[4:5]
	s_wait_dscnt 0x0
	v_dual_mul_f32 v0, s17, v4 :: v_dual_mul_f32 v2, s17, v17
	v_pk_mul_f32 v[4:5], v[8:9], v[16:17]
	s_delay_alu instid0(VALU_DEP_3) | instskip(NEXT) | instid1(VALU_DEP_3)
	v_sub_f32_e32 v43, v24, v25
	v_pk_fma_f32 v[8:9], v[20:21], v[12:13], v[0:1] op_sel_hi:[1,1,0]
	s_delay_alu instid0(VALU_DEP_3) | instskip(SKIP_2) | instid1(VALU_DEP_3)
	v_dual_mov_b32 v9, v3 :: v_dual_add_f32 v44, v4, v5
	v_pk_fma_f32 v[4:5], v[20:21], v[16:17], v[2:3] op_sel_hi:[1,1,0] neg_lo:[0,0,1] neg_hi:[0,0,1]
	v_dual_mov_b32 v5, v1 :: v_dual_mov_b32 v34, v10
	v_dual_mov_b32 v33, v9 :: v_dual_mov_b32 v18, v6
	;; [unrolled: 1-line block ×10, first 2 shown]
	v_mov_b32_e32 v0, v4
	ds_store_b32 v31, v43 offset:68
	ds_store_b32 v35, v44 offset:68
	s_or_b32 exec_lo, exec_lo, s3
	s_and_saveexec_b32 s3, s10
	s_cbranch_execz .LBB0_27
.LBB0_33:
	ds_load_b32 v12, v31 offset:2116
	ds_load_b32 v5, v35 offset:2116
	v_mov_b64_e32 v[8:9], s[16:17]
	v_dual_mov_b32 v16, s17 :: v_dual_mov_b32 v4, v17
	v_dual_mul_f32 v14, s16, v17 :: v_dual_mov_b32 v32, v13
	v_dual_mul_f32 v18, s16, v13 :: v_dual_mov_b32 v17, s16
	v_dual_mov_b32 v30, v26 :: v_dual_mov_b32 v29, v25
	s_wait_dscnt 0x1
	v_dual_mov_b32 v28, v24 :: v_dual_mov_b32 v33, v12
	s_wait_dscnt 0x0
	v_pk_fma_f32 v[44:45], v[8:9], v[4:5], v[14:15] op_sel_hi:[1,1,0] neg_lo:[1,0,0] neg_hi:[1,0,0]
	v_pk_mul_f32 v[12:13], v[8:9], v[12:13]
	v_pk_mul_f32 v[4:5], v[16:17], v[4:5]
	v_pk_fma_f32 v[8:9], v[8:9], v[32:33], v[18:19] op_sel_hi:[1,1,0]
	s_delay_alu instid0(VALU_DEP_4) | instskip(SKIP_1) | instid1(VALU_DEP_3)
	v_dual_mov_b32 v29, v45 :: v_dual_mov_b32 v34, v22
	v_dual_mov_b32 v33, v21 :: v_dual_mov_b32 v32, v20
	v_dual_sub_f32 v8, v12, v13 :: v_dual_mov_b32 v33, v9
	v_dual_mov_b32 v16, v28 :: v_dual_mov_b32 v18, v30
	s_delay_alu instid0(VALU_DEP_3)
	v_dual_mov_b32 v12, v32 :: v_dual_mov_b32 v14, v34
	v_dual_mov_b32 v1, v45 :: v_dual_add_f32 v4, v4, v5
	v_dual_mov_b32 v17, v29 :: v_dual_mov_b32 v3, v9
	v_dual_mov_b32 v18, v6 :: v_dual_mov_b32 v13, v33
	v_mov_b32_e32 v14, v10
	ds_store_b32 v31, v8 offset:2116
	ds_store_b32 v35, v4 offset:2116
	s_or_b32 exec_lo, exec_lo, s3
	s_and_saveexec_b32 s3, s10
	s_cbranch_execnz .LBB0_28
	s_branch .LBB0_29
.LBB0_34:
	v_cmp_gt_i32_e64 s4, s19, v37
	v_cmp_gt_u32_e64 s5, 0x5f, v43
	s_and_b32 s5, s4, s5
	s_delay_alu instid0(SALU_CYCLE_1)
	s_and_saveexec_b32 s4, s5
	s_cbranch_execz .LBB0_36
; %bb.35:
	ds_load_b32 v4, v31
	ds_load_b32 v17, v35
	v_mov_b64_e32 v[8:9], s[16:17]
	v_dual_mov_b32 v5, v12 :: v_dual_mov_b32 v20, s17
	s_wait_dscnt 0x1
	v_dual_mov_b32 v21, s16 :: v_dual_mov_b32 v13, v4
	s_wait_dscnt 0x0
	v_dual_mul_f32 v2, s17, v4 :: v_dual_mul_f32 v0, s17, v17
	s_delay_alu instid0(VALU_DEP_4) | instskip(NEXT) | instid1(VALU_DEP_3)
	v_pk_mul_f32 v[24:25], v[8:9], v[4:5]
	v_pk_mul_f32 v[20:21], v[20:21], v[16:17]
	s_delay_alu instid0(VALU_DEP_3) | instskip(NEXT) | instid1(VALU_DEP_4)
	v_pk_fma_f32 v[4:5], v[8:9], v[16:17], v[0:1] op_sel_hi:[1,1,0] neg_lo:[0,0,1] neg_hi:[0,0,1]
	v_pk_fma_f32 v[8:9], v[8:9], v[12:13], v[2:3] op_sel_hi:[1,1,0]
	s_delay_alu instid0(VALU_DEP_4) | instskip(NEXT) | instid1(VALU_DEP_4)
	v_dual_sub_f32 v44, v24, v25 :: v_dual_mov_b32 v5, v1
	v_dual_add_f32 v45, v20, v21 :: v_dual_mov_b32 v9, v3
	v_dual_mov_b32 v26, v6 :: v_dual_mov_b32 v18, v6
	s_delay_alu instid0(VALU_DEP_3) | instskip(NEXT) | instid1(VALU_DEP_3)
	v_dual_mov_b32 v17, v5 :: v_dual_mov_b32 v34, v10
	v_dual_mov_b32 v33, v9 :: v_dual_mov_b32 v24, v4
	;; [unrolled: 1-line block ×9, first 2 shown]
	ds_store_b32 v31, v44
	ds_store_b32 v35, v45
.LBB0_36:
	s_or_b32 exec_lo, exec_lo, s4
	s_delay_alu instid0(SALU_CYCLE_1)
	s_or_b32 exec_lo, exec_lo, s6
	v_cmp_lt_i32_e64 s4, 0xffffffe0, v37
	s_and_saveexec_b32 s7, s4
	s_cbranch_execz .LBB0_31
.LBB0_37:
	v_cmp_gt_i32_e64 s5, s19, v38
	v_cmp_gt_u32_e64 s6, 64, v36
	s_and_b32 s6, s5, s6
	s_delay_alu instid0(SALU_CYCLE_1)
	s_and_saveexec_b32 s5, s6
	s_cbranch_execz .LBB0_39
; %bb.38:
	ds_load_b32 v12, v31 offset:2048
	ds_load_b32 v5, v35 offset:2048
	v_mov_b64_e32 v[8:9], s[16:17]
	v_dual_mov_b32 v16, s17 :: v_dual_mov_b32 v4, v17
	v_dual_mul_f32 v14, s16, v17 :: v_dual_mov_b32 v32, v13
	v_dual_mul_f32 v18, s16, v13 :: v_dual_mov_b32 v17, s16
	v_dual_mov_b32 v30, v26 :: v_dual_mov_b32 v29, v25
	s_wait_dscnt 0x1
	v_dual_mov_b32 v28, v24 :: v_dual_mov_b32 v33, v12
	s_wait_dscnt 0x0
	v_pk_fma_f32 v[44:45], v[8:9], v[4:5], v[14:15] op_sel_hi:[1,1,0] neg_lo:[1,0,0] neg_hi:[1,0,0]
	v_pk_mul_f32 v[12:13], v[8:9], v[12:13]
	v_pk_mul_f32 v[4:5], v[16:17], v[4:5]
	v_pk_fma_f32 v[8:9], v[8:9], v[32:33], v[18:19] op_sel_hi:[1,1,0]
	v_dual_mov_b32 v34, v22 :: v_dual_mov_b32 v33, v21
	v_dual_mov_b32 v32, v20 :: v_dual_mov_b32 v29, v45
	s_delay_alu instid0(VALU_DEP_3) | instskip(SKIP_1) | instid1(VALU_DEP_3)
	v_dual_sub_f32 v8, v12, v13 :: v_dual_mov_b32 v33, v9
	v_dual_mov_b32 v16, v28 :: v_dual_mov_b32 v18, v30
	v_dual_mov_b32 v12, v32 :: v_dual_mov_b32 v14, v34
	v_dual_mov_b32 v3, v9 :: v_dual_add_f32 v4, v4, v5
	v_dual_mov_b32 v1, v45 :: v_dual_mov_b32 v17, v29
	v_dual_mov_b32 v18, v6 :: v_dual_mov_b32 v13, v33
	v_mov_b32_e32 v14, v10
	ds_store_b32 v31, v8 offset:2048
	ds_store_b32 v35, v4 offset:2048
.LBB0_39:
	s_or_b32 exec_lo, exec_lo, s5
	s_delay_alu instid0(SALU_CYCLE_1)
	s_or_b32 exec_lo, exec_lo, s7
	v_cmp_lt_i32_e64 s5, 0xffffffc0, v37
	s_and_saveexec_b32 s8, s5
	s_cbranch_execz .LBB0_43
.LBB0_40:
	v_cmp_gt_i32_e64 s6, s19, v39
	v_cmp_gt_u32_e64 s7, 32, v36
	s_and_b32 s7, s6, s7
	s_delay_alu instid0(SALU_CYCLE_1)
	s_and_saveexec_b32 s6, s7
	s_cbranch_execz .LBB0_42
; %bb.41:
	ds_load_b32 v5, v35 offset:4096
	ds_load_b32 v8, v31 offset:4096
	v_mov_b64_e32 v[12:13], s[16:17]
	v_dual_mov_b32 v9, v14 :: v_dual_mov_b32 v44, s17
	v_dual_mov_b32 v45, s16 :: v_dual_mov_b32 v4, v18
	v_dual_mov_b32 v46, v14 :: v_dual_mov_b32 v16, v28
	v_dual_mov_b32 v17, v29 :: v_dual_mov_b32 v18, v30
	s_wait_dscnt 0x0
	v_dual_mul_f32 v6, s17, v5 :: v_dual_mov_b32 v47, v8
	v_mul_f32_e32 v10, s17, v8
	v_pk_mul_f32 v[8:9], v[12:13], v[8:9]
	v_pk_mul_f32 v[44:45], v[44:45], v[4:5]
	s_delay_alu instid0(VALU_DEP_4) | instskip(NEXT) | instid1(VALU_DEP_4)
	v_pk_fma_f32 v[4:5], v[12:13], v[4:5], v[6:7] op_sel_hi:[1,1,0] neg_lo:[0,0,1] neg_hi:[0,0,1]
	v_pk_fma_f32 v[46:47], v[12:13], v[46:47], v[10:11] op_sel_hi:[1,1,0]
	v_dual_mov_b32 v12, v32 :: v_dual_mov_b32 v13, v33
	v_dual_mov_b32 v14, v34 :: v_dual_sub_f32 v5, v8, v9
	s_delay_alu instid0(VALU_DEP_3)
	v_dual_mov_b32 v14, v46 :: v_dual_add_f32 v8, v44, v45
	v_dual_mov_b32 v10, v46 :: v_dual_mov_b32 v18, v4
	v_mov_b32_e32 v6, v4
	ds_store_b32 v31, v5 offset:4096
	ds_store_b32 v35, v8 offset:4096
.LBB0_42:
	s_or_b32 exec_lo, exec_lo, s6
.LBB0_43:
	s_delay_alu instid0(SALU_CYCLE_1)
	s_or_b32 exec_lo, exec_lo, s8
	v_cmp_ne_u32_e64 s6, 0, v19
	v_cmp_lt_i32_e64 s7, 0, v42
	v_cmp_gt_u32_e64 s8, 16, v19
	v_add_nc_u32_e32 v42, -4, v7
	v_add_nc_u32_e32 v44, -4, v27
	s_and_b32 s2, s6, s2
	s_wait_dscnt 0x0
	s_and_b32 s2, s7, s2
	s_barrier_signal -1
	s_and_b32 s2, s2, s8
	s_barrier_wait -1
	s_and_saveexec_b32 s6, s2
	s_cbranch_execz .LBB0_45
; %bb.44:
	v_dual_add_nc_u32 v45, v44, v40 :: v_dual_add_nc_u32 v46, v42, v40
	v_mov_b64_e32 v[20:21], s[16:17]
	v_dual_mov_b32 v5, v12 :: v_dual_mov_b32 v8, s17
	ds_load_b32 v4, v45 offset:64
	ds_load_b32 v17, v46 offset:64
	s_wait_dscnt 0x1
	v_dual_mov_b32 v9, s16 :: v_dual_mov_b32 v13, v4
	v_pk_mul_f32 v[24:25], v[20:21], v[4:5]
	s_wait_dscnt 0x0
	v_dual_mul_f32 v0, s17, v4 :: v_dual_mul_f32 v2, s17, v17
	s_delay_alu instid0(VALU_DEP_3) | instskip(NEXT) | instid1(VALU_DEP_3)
	v_pk_mul_f32 v[4:5], v[8:9], v[16:17]
	v_sub_f32_e32 v47, v24, v25
	s_delay_alu instid0(VALU_DEP_3) | instskip(NEXT) | instid1(VALU_DEP_3)
	v_pk_fma_f32 v[8:9], v[20:21], v[12:13], v[0:1] op_sel_hi:[1,1,0]
	v_dual_mov_b32 v9, v3 :: v_dual_add_f32 v48, v4, v5
	v_pk_fma_f32 v[4:5], v[20:21], v[16:17], v[2:3] op_sel_hi:[1,1,0] neg_lo:[0,0,1] neg_hi:[0,0,1]
	v_dual_mov_b32 v5, v1 :: v_dual_mov_b32 v34, v10
	s_delay_alu instid0(VALU_DEP_3)
	v_dual_mov_b32 v33, v9 :: v_dual_mov_b32 v18, v6
	v_dual_mov_b32 v2, v8 :: v_dual_mov_b32 v14, v10
	;; [unrolled: 1-line block ×9, first 2 shown]
	v_mov_b32_e32 v0, v4
	ds_store_b32 v45, v47 offset:64
	ds_store_b32 v46, v48 offset:64
.LBB0_45:
	s_or_b32 exec_lo, exec_lo, s6
	v_add_nc_u32_e32 v4, 32, v41
	s_delay_alu instid0(VALU_DEP_1)
	v_lshlrev_b32_e32 v45, 6, v4
	s_and_saveexec_b32 s6, s2
	s_cbranch_execz .LBB0_47
; %bb.46:
	s_delay_alu instid0(VALU_DEP_1)
	v_dual_add_nc_u32 v48, v44, v45 :: v_dual_add_nc_u32 v49, v42, v45
	v_mov_b64_e32 v[8:9], s[16:17]
	v_dual_mov_b32 v16, s17 :: v_dual_mov_b32 v4, v17
	ds_load_b32 v12, v48 offset:64
	ds_load_b32 v5, v49 offset:64
	v_dual_mul_f32 v14, s16, v17 :: v_dual_mov_b32 v32, v13
	v_dual_mul_f32 v18, s16, v13 :: v_dual_mov_b32 v17, s16
	v_dual_mov_b32 v30, v26 :: v_dual_mov_b32 v29, v25
	s_wait_dscnt 0x1
	v_dual_mov_b32 v28, v24 :: v_dual_mov_b32 v33, v12
	s_wait_dscnt 0x0
	v_pk_fma_f32 v[46:47], v[8:9], v[4:5], v[14:15] op_sel_hi:[1,1,0] neg_lo:[1,0,0] neg_hi:[1,0,0]
	v_pk_mul_f32 v[12:13], v[8:9], v[12:13]
	v_pk_mul_f32 v[4:5], v[16:17], v[4:5]
	v_pk_fma_f32 v[8:9], v[8:9], v[32:33], v[18:19] op_sel_hi:[1,1,0]
	s_delay_alu instid0(VALU_DEP_4) | instskip(SKIP_1) | instid1(VALU_DEP_3)
	v_dual_mov_b32 v29, v47 :: v_dual_mov_b32 v34, v22
	v_dual_mov_b32 v33, v21 :: v_dual_mov_b32 v32, v20
	v_dual_sub_f32 v8, v12, v13 :: v_dual_mov_b32 v33, v9
	v_dual_mov_b32 v16, v28 :: v_dual_mov_b32 v18, v30
	s_delay_alu instid0(VALU_DEP_3)
	v_dual_mov_b32 v12, v32 :: v_dual_mov_b32 v14, v34
	v_dual_mov_b32 v1, v47 :: v_dual_add_f32 v4, v4, v5
	v_dual_mov_b32 v17, v29 :: v_dual_mov_b32 v3, v9
	v_dual_mov_b32 v18, v6 :: v_dual_mov_b32 v13, v33
	v_mov_b32_e32 v14, v10
	ds_store_b32 v48, v8 offset:64
	ds_store_b32 v49, v4 offset:64
.LBB0_47:
	s_or_b32 exec_lo, exec_lo, s6
	v_add_nc_u32_e32 v4, 64, v41
	s_delay_alu instid0(VALU_DEP_1)
	v_lshlrev_b32_e32 v41, 6, v4
	s_and_saveexec_b32 s6, s2
	s_cbranch_execz .LBB0_49
; %bb.48:
	s_delay_alu instid0(VALU_DEP_1)
	v_dual_add_nc_u32 v50, v42, v41 :: v_dual_add_nc_u32 v51, v44, v41
	v_mov_b64_e32 v[12:13], s[16:17]
	v_dual_mov_b32 v9, v14 :: v_dual_mov_b32 v46, s17
	ds_load_b32 v5, v50 offset:64
	ds_load_b32 v8, v51 offset:64
	v_dual_mov_b32 v47, s16 :: v_dual_mov_b32 v4, v18
	v_dual_mov_b32 v48, v14 :: v_dual_mov_b32 v16, v28
	;; [unrolled: 1-line block ×3, first 2 shown]
	s_wait_dscnt 0x0
	v_dual_mul_f32 v6, s17, v5 :: v_dual_mov_b32 v49, v8
	v_mul_f32_e32 v10, s17, v8
	v_pk_mul_f32 v[8:9], v[12:13], v[8:9]
	v_pk_mul_f32 v[46:47], v[46:47], v[4:5]
	s_delay_alu instid0(VALU_DEP_4) | instskip(NEXT) | instid1(VALU_DEP_4)
	v_pk_fma_f32 v[4:5], v[12:13], v[4:5], v[6:7] op_sel_hi:[1,1,0] neg_lo:[0,0,1] neg_hi:[0,0,1]
	v_pk_fma_f32 v[48:49], v[12:13], v[48:49], v[10:11] op_sel_hi:[1,1,0]
	v_dual_mov_b32 v12, v32 :: v_dual_mov_b32 v13, v33
	v_dual_mov_b32 v14, v34 :: v_dual_sub_f32 v5, v8, v9
	s_delay_alu instid0(VALU_DEP_4) | instskip(NEXT) | instid1(VALU_DEP_4)
	v_dual_add_f32 v8, v46, v47 :: v_dual_mov_b32 v18, v4
	v_dual_mov_b32 v14, v48 :: v_dual_mov_b32 v10, v48
	v_mov_b32_e32 v6, v4
	ds_store_b32 v51, v5 offset:64
	ds_store_b32 v50, v8 offset:64
.LBB0_49:
	s_or_b32 exec_lo, exec_lo, s6
	s_wait_dscnt 0x0
	s_barrier_signal -1
	s_barrier_wait -1
	s_and_saveexec_b32 s6, s2
	s_cbranch_execnz .LBB0_56
; %bb.50:
	s_or_b32 exec_lo, exec_lo, s6
	s_and_saveexec_b32 s6, s2
	s_cbranch_execnz .LBB0_57
.LBB0_51:
	s_or_b32 exec_lo, exec_lo, s6
	s_and_saveexec_b32 s6, s2
	s_cbranch_execz .LBB0_53
.LBB0_52:
	v_dual_add_nc_u32 v42, v42, v41 :: v_dual_add_nc_u32 v46, v44, v41
	v_mov_b64_e32 v[12:13], s[16:17]
	v_dual_mov_b32 v9, v14 :: v_dual_mov_b32 v40, s17
	ds_load_b32 v5, v42 offset:64
	ds_load_b32 v8, v46 offset:64
	v_dual_mov_b32 v41, s16 :: v_dual_mov_b32 v4, v18
	v_dual_mov_b32 v44, v14 :: v_dual_mov_b32 v16, v28
	;; [unrolled: 1-line block ×3, first 2 shown]
	s_wait_dscnt 0x0
	v_dual_mul_f32 v6, s17, v5 :: v_dual_mov_b32 v45, v8
	v_mul_f32_e32 v10, s17, v8
	v_pk_mul_f32 v[8:9], v[12:13], v[8:9]
	v_pk_mul_f32 v[40:41], v[40:41], v[4:5]
	s_delay_alu instid0(VALU_DEP_4) | instskip(NEXT) | instid1(VALU_DEP_4)
	v_pk_fma_f32 v[4:5], v[12:13], v[4:5], v[6:7] op_sel_hi:[1,1,0] neg_lo:[0,0,1] neg_hi:[0,0,1]
	v_pk_fma_f32 v[44:45], v[12:13], v[44:45], v[10:11] op_sel_hi:[1,1,0]
	v_dual_mov_b32 v12, v32 :: v_dual_mov_b32 v13, v33
	v_dual_mov_b32 v14, v34 :: v_dual_sub_f32 v5, v8, v9
	s_delay_alu instid0(VALU_DEP_3)
	v_dual_mov_b32 v18, v4 :: v_dual_mov_b32 v14, v44
	v_dual_mov_b32 v10, v44 :: v_dual_mov_b32 v6, v4
	v_add_f32_e32 v8, v40, v41
	ds_store_b32 v46, v5 offset:64
	ds_store_b32 v42, v8 offset:64
.LBB0_53:
	s_or_b32 exec_lo, exec_lo, s6
	s_wait_dscnt 0x0
	s_barrier_signal -1
	s_barrier_wait -1
	s_and_saveexec_b32 s6, s3
	s_cbranch_execnz .LBB0_58
; %bb.54:
	s_or_b32 exec_lo, exec_lo, s6
	s_and_saveexec_b32 s6, s4
	s_cbranch_execnz .LBB0_61
.LBB0_55:
	s_or_b32 exec_lo, exec_lo, s6
	s_and_saveexec_b32 s4, s5
	s_cbranch_execnz .LBB0_64
	s_branch .LBB0_67
.LBB0_56:
	v_dual_add_nc_u32 v46, v44, v40 :: v_dual_add_nc_u32 v40, v42, v40
	v_mov_b64_e32 v[20:21], s[16:17]
	v_dual_mov_b32 v5, v12 :: v_dual_mov_b32 v8, s17
	ds_load_b32 v4, v46 offset:64
	ds_load_b32 v17, v40 offset:64
	s_wait_dscnt 0x1
	v_dual_mov_b32 v9, s16 :: v_dual_mov_b32 v13, v4
	v_pk_mul_f32 v[24:25], v[20:21], v[4:5]
	s_wait_dscnt 0x0
	v_dual_mul_f32 v0, s17, v4 :: v_dual_mul_f32 v2, s17, v17
	s_delay_alu instid0(VALU_DEP_3) | instskip(NEXT) | instid1(VALU_DEP_3)
	v_pk_mul_f32 v[4:5], v[8:9], v[16:17]
	v_sub_f32_e32 v47, v24, v25
	s_delay_alu instid0(VALU_DEP_3) | instskip(NEXT) | instid1(VALU_DEP_3)
	v_pk_fma_f32 v[8:9], v[20:21], v[12:13], v[0:1] op_sel_hi:[1,1,0]
	v_dual_mov_b32 v9, v3 :: v_dual_add_f32 v48, v4, v5
	v_pk_fma_f32 v[4:5], v[20:21], v[16:17], v[2:3] op_sel_hi:[1,1,0] neg_lo:[0,0,1] neg_hi:[0,0,1]
	v_dual_mov_b32 v5, v1 :: v_dual_mov_b32 v34, v10
	s_delay_alu instid0(VALU_DEP_3)
	v_dual_mov_b32 v33, v9 :: v_dual_mov_b32 v18, v6
	v_dual_mov_b32 v2, v8 :: v_dual_mov_b32 v14, v10
	;; [unrolled: 1-line block ×9, first 2 shown]
	v_mov_b32_e32 v0, v4
	ds_store_b32 v46, v47 offset:64
	ds_store_b32 v40, v48 offset:64
	s_or_b32 exec_lo, exec_lo, s6
	s_and_saveexec_b32 s6, s2
	s_cbranch_execz .LBB0_51
.LBB0_57:
	v_dual_add_nc_u32 v40, v44, v45 :: v_dual_add_nc_u32 v45, v42, v45
	v_mov_b64_e32 v[8:9], s[16:17]
	v_dual_mov_b32 v16, s17 :: v_dual_mov_b32 v4, v17
	ds_load_b32 v12, v40 offset:64
	ds_load_b32 v5, v45 offset:64
	v_dual_mul_f32 v14, s16, v17 :: v_dual_mov_b32 v32, v13
	v_dual_mul_f32 v18, s16, v13 :: v_dual_mov_b32 v17, s16
	v_dual_mov_b32 v30, v26 :: v_dual_mov_b32 v29, v25
	s_wait_dscnt 0x1
	v_dual_mov_b32 v28, v24 :: v_dual_mov_b32 v33, v12
	s_wait_dscnt 0x0
	v_pk_fma_f32 v[46:47], v[8:9], v[4:5], v[14:15] op_sel_hi:[1,1,0] neg_lo:[1,0,0] neg_hi:[1,0,0]
	v_pk_mul_f32 v[12:13], v[8:9], v[12:13]
	v_pk_mul_f32 v[4:5], v[16:17], v[4:5]
	v_pk_fma_f32 v[8:9], v[8:9], v[32:33], v[18:19] op_sel_hi:[1,1,0]
	s_delay_alu instid0(VALU_DEP_4) | instskip(SKIP_1) | instid1(VALU_DEP_3)
	v_dual_mov_b32 v29, v47 :: v_dual_mov_b32 v34, v22
	v_dual_mov_b32 v33, v21 :: v_dual_mov_b32 v32, v20
	v_dual_sub_f32 v8, v12, v13 :: v_dual_mov_b32 v33, v9
	v_dual_mov_b32 v16, v28 :: v_dual_mov_b32 v18, v30
	s_delay_alu instid0(VALU_DEP_3)
	v_dual_mov_b32 v12, v32 :: v_dual_mov_b32 v14, v34
	v_dual_mov_b32 v1, v47 :: v_dual_add_f32 v4, v4, v5
	v_dual_mov_b32 v17, v29 :: v_dual_mov_b32 v3, v9
	v_dual_mov_b32 v18, v6 :: v_dual_mov_b32 v13, v33
	v_mov_b32_e32 v14, v10
	ds_store_b32 v40, v8 offset:64
	ds_store_b32 v45, v4 offset:64
	s_or_b32 exec_lo, exec_lo, s6
	s_and_saveexec_b32 s6, s2
	s_cbranch_execnz .LBB0_52
	s_branch .LBB0_53
.LBB0_58:
	v_cmp_gt_i32_e64 s2, s19, v37
	v_cmp_gt_u32_e64 s3, 0x5f, v43
	s_and_b32 s3, s2, s3
	s_delay_alu instid0(SALU_CYCLE_1)
	s_and_saveexec_b32 s2, s3
	s_cbranch_execz .LBB0_60
; %bb.59:
	ds_load_b32 v4, v31
	ds_load_b32 v17, v35
	v_mov_b64_e32 v[8:9], s[16:17]
	v_dual_mov_b32 v5, v12 :: v_dual_mov_b32 v20, s17
	s_wait_dscnt 0x1
	v_dual_mov_b32 v21, s16 :: v_dual_mov_b32 v13, v4
	s_wait_dscnt 0x0
	v_dual_mul_f32 v2, s17, v4 :: v_dual_mul_f32 v0, s17, v17
	s_delay_alu instid0(VALU_DEP_4) | instskip(NEXT) | instid1(VALU_DEP_3)
	v_pk_mul_f32 v[24:25], v[8:9], v[4:5]
	v_pk_mul_f32 v[20:21], v[20:21], v[16:17]
	s_delay_alu instid0(VALU_DEP_3) | instskip(NEXT) | instid1(VALU_DEP_4)
	v_pk_fma_f32 v[4:5], v[8:9], v[16:17], v[0:1] op_sel_hi:[1,1,0] neg_lo:[0,0,1] neg_hi:[0,0,1]
	v_pk_fma_f32 v[8:9], v[8:9], v[12:13], v[2:3] op_sel_hi:[1,1,0]
	s_delay_alu instid0(VALU_DEP_4) | instskip(NEXT) | instid1(VALU_DEP_4)
	v_dual_sub_f32 v40, v24, v25 :: v_dual_mov_b32 v5, v1
	v_dual_add_f32 v41, v20, v21 :: v_dual_mov_b32 v9, v3
	v_dual_mov_b32 v26, v6 :: v_dual_mov_b32 v18, v6
	s_delay_alu instid0(VALU_DEP_3) | instskip(NEXT) | instid1(VALU_DEP_3)
	v_dual_mov_b32 v17, v5 :: v_dual_mov_b32 v34, v10
	v_dual_mov_b32 v33, v9 :: v_dual_mov_b32 v24, v4
	;; [unrolled: 1-line block ×9, first 2 shown]
	ds_store_b32 v31, v40
	ds_store_b32 v35, v41
.LBB0_60:
	s_or_b32 exec_lo, exec_lo, s2
	s_delay_alu instid0(SALU_CYCLE_1)
	s_or_b32 exec_lo, exec_lo, s6
	s_and_saveexec_b32 s6, s4
	s_cbranch_execz .LBB0_55
.LBB0_61:
	v_cmp_gt_i32_e64 s2, s19, v38
	v_cmp_gt_u32_e64 s3, 64, v36
	s_and_b32 s3, s2, s3
	s_delay_alu instid0(SALU_CYCLE_1)
	s_and_saveexec_b32 s2, s3
	s_cbranch_execz .LBB0_63
; %bb.62:
	ds_load_b32 v12, v31 offset:2048
	ds_load_b32 v5, v35 offset:2048
	v_mov_b64_e32 v[8:9], s[16:17]
	v_dual_mov_b32 v16, s17 :: v_dual_mov_b32 v4, v17
	v_dual_mul_f32 v14, s16, v17 :: v_dual_mov_b32 v32, v13
	v_dual_mul_f32 v18, s16, v13 :: v_dual_mov_b32 v17, s16
	v_dual_mov_b32 v30, v26 :: v_dual_mov_b32 v29, v25
	s_wait_dscnt 0x1
	v_dual_mov_b32 v28, v24 :: v_dual_mov_b32 v33, v12
	s_wait_dscnt 0x0
	v_pk_fma_f32 v[40:41], v[8:9], v[4:5], v[14:15] op_sel_hi:[1,1,0] neg_lo:[1,0,0] neg_hi:[1,0,0]
	v_pk_mul_f32 v[12:13], v[8:9], v[12:13]
	v_pk_mul_f32 v[4:5], v[16:17], v[4:5]
	v_pk_fma_f32 v[8:9], v[8:9], v[32:33], v[18:19] op_sel_hi:[1,1,0]
	v_dual_mov_b32 v34, v22 :: v_dual_mov_b32 v33, v21
	v_dual_mov_b32 v32, v20 :: v_dual_mov_b32 v29, v41
	s_delay_alu instid0(VALU_DEP_3) | instskip(SKIP_1) | instid1(VALU_DEP_3)
	v_dual_sub_f32 v8, v12, v13 :: v_dual_mov_b32 v33, v9
	v_dual_mov_b32 v16, v28 :: v_dual_mov_b32 v18, v30
	v_dual_mov_b32 v12, v32 :: v_dual_mov_b32 v14, v34
	v_dual_mov_b32 v3, v9 :: v_dual_add_f32 v4, v4, v5
	v_dual_mov_b32 v1, v41 :: v_dual_mov_b32 v17, v29
	v_dual_mov_b32 v18, v6 :: v_dual_mov_b32 v13, v33
	v_mov_b32_e32 v14, v10
	ds_store_b32 v31, v8 offset:2048
	ds_store_b32 v35, v4 offset:2048
.LBB0_63:
	s_or_b32 exec_lo, exec_lo, s2
	s_delay_alu instid0(SALU_CYCLE_1)
	s_or_b32 exec_lo, exec_lo, s6
	s_and_saveexec_b32 s4, s5
	s_cbranch_execz .LBB0_67
.LBB0_64:
	v_cmp_gt_i32_e64 s2, s19, v39
	v_cmp_gt_u32_e64 s3, 32, v36
	s_and_b32 s3, s2, s3
	s_delay_alu instid0(SALU_CYCLE_1)
	s_and_saveexec_b32 s2, s3
	s_cbranch_execz .LBB0_66
; %bb.65:
	ds_load_b32 v5, v35 offset:4096
	ds_load_b32 v8, v31 offset:4096
	v_mov_b64_e32 v[12:13], s[16:17]
	v_dual_mov_b32 v9, v14 :: v_dual_mov_b32 v40, s17
	v_dual_mov_b32 v41, s16 :: v_dual_mov_b32 v4, v18
	;; [unrolled: 1-line block ×4, first 2 shown]
	s_wait_dscnt 0x0
	v_dual_mul_f32 v6, s17, v5 :: v_dual_mov_b32 v43, v8
	v_mul_f32_e32 v10, s17, v8
	v_pk_mul_f32 v[8:9], v[12:13], v[8:9]
	v_pk_mul_f32 v[40:41], v[40:41], v[4:5]
	s_delay_alu instid0(VALU_DEP_4) | instskip(NEXT) | instid1(VALU_DEP_4)
	v_pk_fma_f32 v[4:5], v[12:13], v[4:5], v[6:7] op_sel_hi:[1,1,0] neg_lo:[0,0,1] neg_hi:[0,0,1]
	v_pk_fma_f32 v[42:43], v[12:13], v[42:43], v[10:11] op_sel_hi:[1,1,0]
	v_dual_mov_b32 v12, v32 :: v_dual_mov_b32 v13, v33
	v_dual_mov_b32 v14, v34 :: v_dual_sub_f32 v5, v8, v9
	s_delay_alu instid0(VALU_DEP_3)
	v_dual_mov_b32 v14, v42 :: v_dual_add_f32 v8, v40, v41
	v_dual_mov_b32 v10, v42 :: v_dual_mov_b32 v18, v4
	v_mov_b32_e32 v6, v4
	ds_store_b32 v31, v5 offset:4096
	ds_store_b32 v35, v8 offset:4096
.LBB0_66:
	s_or_b32 exec_lo, exec_lo, s2
.LBB0_67:
	s_delay_alu instid0(SALU_CYCLE_1)
	s_or_b32 exec_lo, exec_lo, s4
	s_wait_dscnt 0x0
	s_barrier_signal -1
	s_barrier_wait -1
	s_and_saveexec_b32 s2, s10
	s_cbranch_execnz .LBB0_74
; %bb.68:
	s_or_b32 exec_lo, exec_lo, s2
	s_and_saveexec_b32 s2, s10
	s_cbranch_execnz .LBB0_75
.LBB0_69:
	s_or_b32 exec_lo, exec_lo, s2
	s_and_saveexec_b32 s2, s10
	s_cbranch_execz .LBB0_71
.LBB0_70:
	ds_load_b32 v4, v31 offset:4164
	ds_load_b32 v9, v35 offset:4164
	v_mov_b64_e32 v[12:13], s[16:17]
	v_dual_mov_b32 v5, v14 :: v_dual_mov_b32 v8, v18
	v_dual_mov_b32 v16, v14 :: v_dual_mov_b32 v20, s17
	s_wait_dscnt 0x1
	v_dual_mov_b32 v21, s16 :: v_dual_mov_b32 v17, v4
	s_wait_dscnt 0x0
	v_dual_mul_f32 v6, s17, v4 :: v_dual_mul_f32 v10, s17, v9
	v_pk_mul_f32 v[4:5], v[12:13], v[4:5]
	s_delay_alu instid0(VALU_DEP_2) | instskip(NEXT) | instid1(VALU_DEP_3)
	v_pk_fma_f32 v[16:17], v[12:13], v[16:17], v[6:7] op_sel_hi:[1,1,0]
	v_pk_fma_f32 v[24:25], v[12:13], v[8:9], v[10:11] op_sel_hi:[1,1,0] neg_lo:[0,0,1] neg_hi:[0,0,1]
	v_pk_mul_f32 v[8:9], v[20:21], v[8:9]
	s_delay_alu instid0(VALU_DEP_2) | instskip(SKIP_3) | instid1(VALU_DEP_4)
	v_dual_mov_b32 v34, v16 :: v_dual_mov_b32 v30, v24
	v_dual_mov_b32 v10, v16 :: v_dual_mov_b32 v12, v32
	;; [unrolled: 1-line block ×3, first 2 shown]
	v_dual_sub_f32 v4, v4, v5 :: v_dual_mov_b32 v13, v33
	v_dual_add_f32 v5, v8, v9 :: v_dual_mov_b32 v14, v34
	v_dual_mov_b32 v18, v30 :: v_dual_mov_b32 v6, v24
	ds_store_b32 v31, v4 offset:4164
	ds_store_b32 v35, v5 offset:4164
.LBB0_71:
	s_or_b32 exec_lo, exec_lo, s2
	s_wait_dscnt 0x0
	s_barrier_signal -1
	s_barrier_wait -1
	s_and_saveexec_b32 s3, vcc_lo
	s_cbranch_execnz .LBB0_76
; %bb.72:
	s_or_b32 exec_lo, exec_lo, s3
	s_and_saveexec_b32 s2, s0
	s_cbranch_execnz .LBB0_79
.LBB0_73:
	s_or_b32 exec_lo, exec_lo, s2
	s_and_saveexec_b32 s2, s1
	s_cbranch_execnz .LBB0_82
	s_branch .LBB0_85
.LBB0_74:
	ds_load_b32 v4, v31 offset:68
	ds_load_b32 v17, v35 offset:68
	v_mov_b64_e32 v[20:21], s[16:17]
	v_dual_mov_b32 v5, v12 :: v_dual_mov_b32 v8, s17
	s_wait_dscnt 0x1
	v_dual_mov_b32 v9, s16 :: v_dual_mov_b32 v13, v4
	s_delay_alu instid0(VALU_DEP_2) | instskip(SKIP_2) | instid1(VALU_DEP_3)
	v_pk_mul_f32 v[24:25], v[20:21], v[4:5]
	s_wait_dscnt 0x0
	v_dual_mul_f32 v0, s17, v4 :: v_dual_mul_f32 v2, s17, v17
	v_pk_mul_f32 v[4:5], v[8:9], v[16:17]
	s_delay_alu instid0(VALU_DEP_3) | instskip(NEXT) | instid1(VALU_DEP_3)
	v_sub_f32_e32 v40, v24, v25
	v_pk_fma_f32 v[8:9], v[20:21], v[12:13], v[0:1] op_sel_hi:[1,1,0]
	s_delay_alu instid0(VALU_DEP_3) | instskip(SKIP_2) | instid1(VALU_DEP_3)
	v_dual_mov_b32 v9, v3 :: v_dual_add_f32 v41, v4, v5
	v_pk_fma_f32 v[4:5], v[20:21], v[16:17], v[2:3] op_sel_hi:[1,1,0] neg_lo:[0,0,1] neg_hi:[0,0,1]
	v_dual_mov_b32 v5, v1 :: v_dual_mov_b32 v34, v10
	v_dual_mov_b32 v33, v9 :: v_dual_mov_b32 v18, v6
	;; [unrolled: 1-line block ×10, first 2 shown]
	v_mov_b32_e32 v0, v4
	ds_store_b32 v31, v40 offset:68
	ds_store_b32 v35, v41 offset:68
	s_or_b32 exec_lo, exec_lo, s2
	s_and_saveexec_b32 s2, s10
	s_cbranch_execz .LBB0_69
.LBB0_75:
	ds_load_b32 v12, v31 offset:2116
	ds_load_b32 v5, v35 offset:2116
	v_mov_b64_e32 v[8:9], s[16:17]
	v_dual_mov_b32 v16, s17 :: v_dual_mov_b32 v4, v17
	v_dual_mul_f32 v14, s16, v17 :: v_dual_mov_b32 v17, s16
	v_dual_mov_b32 v28, v13 :: v_dual_mul_f32 v18, s16, v13
	s_wait_dscnt 0x0
	s_delay_alu instid0(VALU_DEP_2) | instskip(SKIP_3) | instid1(VALU_DEP_4)
	v_pk_fma_f32 v[40:41], v[8:9], v[4:5], v[14:15] op_sel_hi:[1,1,0] neg_lo:[1,0,0] neg_hi:[1,0,0]
	v_mov_b32_e32 v29, v12
	v_pk_mul_f32 v[12:13], v[8:9], v[12:13]
	v_pk_mul_f32 v[4:5], v[16:17], v[4:5]
	v_mov_b32_e32 v25, v41
	s_delay_alu instid0(VALU_DEP_4) | instskip(NEXT) | instid1(VALU_DEP_4)
	v_pk_fma_f32 v[8:9], v[8:9], v[28:29], v[18:19] op_sel_hi:[1,1,0]
	v_sub_f32_e32 v8, v12, v13
	v_dual_mov_b32 v16, v24 :: v_dual_mov_b32 v18, v26
	s_delay_alu instid0(VALU_DEP_4) | instskip(NEXT) | instid1(VALU_DEP_4)
	v_dual_mov_b32 v30, v26 :: v_dual_mov_b32 v29, v25
	v_dual_mov_b32 v21, v9 :: v_dual_mov_b32 v18, v6
	;; [unrolled: 1-line block ×3, first 2 shown]
	s_delay_alu instid0(VALU_DEP_2)
	v_dual_mov_b32 v34, v22 :: v_dual_mov_b32 v33, v21
	v_dual_mov_b32 v13, v21 :: v_dual_add_f32 v4, v4, v5
	v_dual_mov_b32 v17, v25 :: v_dual_mov_b32 v28, v24
	v_dual_mov_b32 v3, v9 :: v_dual_mov_b32 v32, v20
	v_dual_mov_b32 v14, v10 :: v_dual_mov_b32 v1, v41
	ds_store_b32 v31, v8 offset:2116
	ds_store_b32 v35, v4 offset:2116
	s_or_b32 exec_lo, exec_lo, s2
	s_and_saveexec_b32 s2, s10
	s_cbranch_execnz .LBB0_70
	s_branch .LBB0_71
.LBB0_76:
	v_cmp_gt_i32_e32 vcc_lo, s9, v37
	v_cmp_gt_u32_e64 s2, 0x5f, v36
	s_and_b32 s4, s2, vcc_lo
	s_delay_alu instid0(SALU_CYCLE_1)
	s_and_saveexec_b32 s2, s4
	s_cbranch_execz .LBB0_78
; %bb.77:
	ds_load_b32 v4, v31 offset:128
	ds_load_b32 v17, v35 offset:128
	v_mov_b64_e32 v[8:9], s[16:17]
	v_dual_mov_b32 v5, v12 :: v_dual_mov_b32 v20, s17
	s_wait_dscnt 0x1
	v_dual_mov_b32 v21, s16 :: v_dual_mov_b32 v13, v4
	s_wait_dscnt 0x0
	v_dual_mul_f32 v2, s17, v4 :: v_dual_mul_f32 v0, s17, v17
	s_delay_alu instid0(VALU_DEP_4) | instskip(NEXT) | instid1(VALU_DEP_3)
	v_pk_mul_f32 v[24:25], v[8:9], v[4:5]
	v_pk_mul_f32 v[20:21], v[20:21], v[16:17]
	s_delay_alu instid0(VALU_DEP_3) | instskip(NEXT) | instid1(VALU_DEP_4)
	v_pk_fma_f32 v[4:5], v[8:9], v[16:17], v[0:1] op_sel_hi:[1,1,0] neg_lo:[0,0,1] neg_hi:[0,0,1]
	v_pk_fma_f32 v[8:9], v[8:9], v[12:13], v[2:3] op_sel_hi:[1,1,0]
	s_delay_alu instid0(VALU_DEP_4) | instskip(NEXT) | instid1(VALU_DEP_3)
	v_dual_sub_f32 v22, v24, v25 :: v_dual_mov_b32 v18, v2
	v_dual_mov_b32 v16, v0 :: v_dual_mov_b32 v14, v4
	v_dual_add_f32 v20, v20, v21 :: v_dual_mov_b32 v17, v1
	v_dual_mov_b32 v13, v3 :: v_dual_mov_b32 v12, v2
	v_dual_mov_b32 v18, v6 :: v_dual_mov_b32 v14, v10
	;; [unrolled: 1-line block ×3, first 2 shown]
	ds_store_b32 v31, v22 offset:128
	ds_store_b32 v35, v20 offset:128
.LBB0_78:
	s_or_b32 exec_lo, exec_lo, s2
	s_delay_alu instid0(SALU_CYCLE_1)
	s_or_b32 exec_lo, exec_lo, s3
	s_and_saveexec_b32 s2, s0
	s_cbranch_execz .LBB0_73
.LBB0_79:
	v_cmp_gt_i32_e32 vcc_lo, s9, v38
	v_cmp_gt_u32_e64 s0, 63, v36
	s_and_b32 s3, s0, vcc_lo
	s_delay_alu instid0(SALU_CYCLE_1)
	s_and_saveexec_b32 s0, s3
	s_cbranch_execz .LBB0_81
; %bb.80:
	ds_load_b32 v12, v31 offset:2176
	ds_load_b32 v5, v35 offset:2176
	v_mov_b64_e32 v[8:9], s[16:17]
	v_dual_mov_b32 v20, s17 :: v_dual_mov_b32 v21, s16
	v_dual_mov_b32 v4, v17 :: v_dual_mul_f32 v14, s16, v17
	v_dual_mov_b32 v16, v13 :: v_dual_mul_f32 v18, s16, v13
	s_wait_dscnt 0x0
	s_delay_alu instid0(VALU_DEP_2) | instskip(NEXT) | instid1(VALU_DEP_3)
	v_pk_mul_f32 v[20:21], v[20:21], v[4:5]
	v_pk_fma_f32 v[4:5], v[8:9], v[4:5], v[14:15] op_sel_hi:[1,1,0] neg_lo:[1,0,0] neg_hi:[1,0,0]
	v_mov_b32_e32 v17, v12
	v_pk_mul_f32 v[12:13], v[8:9], v[12:13]
	s_delay_alu instid0(VALU_DEP_3) | instskip(NEXT) | instid1(VALU_DEP_3)
	v_mov_b32_e32 v1, v5
	v_pk_fma_f32 v[8:9], v[8:9], v[16:17], v[18:19] op_sel_hi:[1,1,0]
	v_dual_mov_b32 v18, v6 :: v_dual_mov_b32 v17, v5
	v_mov_b32_e32 v16, v4
	v_sub_f32_e32 v4, v12, v13
	s_delay_alu instid0(VALU_DEP_4)
	v_dual_add_f32 v8, v20, v21 :: v_dual_mov_b32 v3, v9
	v_dual_mov_b32 v14, v10 :: v_dual_mov_b32 v13, v9
	ds_store_b32 v31, v4 offset:2176
	ds_store_b32 v35, v8 offset:2176
	v_mov_b32_e32 v12, v8
.LBB0_81:
	s_or_b32 exec_lo, exec_lo, s0
	s_delay_alu instid0(SALU_CYCLE_1)
	s_or_b32 exec_lo, exec_lo, s2
	s_and_saveexec_b32 s2, s1
	s_cbranch_execz .LBB0_85
.LBB0_82:
	v_cmp_gt_i32_e32 vcc_lo, s9, v39
	v_cmp_gt_u32_e64 s0, 31, v36
	s_and_b32 s1, s0, vcc_lo
	s_delay_alu instid0(SALU_CYCLE_1)
	s_and_saveexec_b32 s0, s1
	s_cbranch_execz .LBB0_84
; %bb.83:
	ds_load_b32 v5, v35 offset:4224
	ds_load_b32 v8, v31 offset:4224
	v_mov_b64_e32 v[12:13], s[16:17]
	v_dual_mov_b32 v9, v14 :: v_dual_mov_b32 v16, s17
	v_dual_mov_b32 v17, s16 :: v_dual_mov_b32 v4, v18
	s_wait_dscnt 0x1
	v_dual_mov_b32 v20, v14 :: v_dual_mul_f32 v6, s17, v5
	s_wait_dscnt 0x0
	v_dual_mov_b32 v21, v8 :: v_dual_mul_f32 v10, s17, v8
	v_pk_mul_f32 v[8:9], v[12:13], v[8:9]
	v_pk_mul_f32 v[16:17], v[16:17], v[4:5]
	v_pk_fma_f32 v[4:5], v[12:13], v[4:5], v[6:7] op_sel_hi:[1,1,0] neg_lo:[0,0,1] neg_hi:[0,0,1]
	s_delay_alu instid0(VALU_DEP_4) | instskip(NEXT) | instid1(VALU_DEP_4)
	v_pk_fma_f32 v[12:13], v[12:13], v[20:21], v[10:11] op_sel_hi:[1,1,0]
	v_sub_f32_e32 v5, v8, v9
	s_delay_alu instid0(VALU_DEP_4) | instskip(NEXT) | instid1(VALU_DEP_4)
	v_add_f32_e32 v8, v16, v17
	v_mov_b32_e32 v6, v4
	ds_store_b32 v31, v5 offset:4224
	ds_store_b32 v35, v8 offset:4224
	v_mov_b32_e32 v10, v12
.LBB0_84:
	s_or_b32 exec_lo, exec_lo, s0
.LBB0_85:
	s_delay_alu instid0(SALU_CYCLE_1)
	s_or_b32 exec_lo, exec_lo, s2
	v_cmp_gt_u32_e32 vcc_lo, 10, v19
	v_cmp_gt_i32_e64 s0, s18, v23
	v_add_nc_u32_e32 v4, 64, v31
	v_add_nc_u32_e32 v5, 64, v35
	s_wait_dscnt 0x0
	s_barrier_signal -1
	s_and_b32 s0, vcc_lo, s0
	s_barrier_wait -1
	ds_store_2addr_stride64_b32 v4, v0, v1 offset1:8
	ds_store_2addr_stride64_b32 v5, v2, v3 offset1:8
	ds_store_b32 v31, v6 offset:4160
	ds_store_b32 v35, v10 offset:4160
	s_wait_dscnt 0x0
	s_barrier_signal -1
	s_barrier_wait -1
	s_and_saveexec_b32 s1, s0
	s_cbranch_execz .LBB0_98
; %bb.86:
	v_mad_u32 v1, s18, v15, v23
	v_cmp_gt_u32_e32 vcc_lo, 0x58, v11
	v_cmp_gt_i32_e64 s0, s19, v15
	v_lshlrev_b32_e32 v0, 6, v11
	s_and_b32 s1, vcc_lo, s0
	s_delay_alu instid0(SALU_CYCLE_1)
	s_and_saveexec_b32 s0, s1
	s_cbranch_execz .LBB0_88
; %bb.87:
	s_delay_alu instid0(VALU_DEP_1)
	v_add_nc_u32_e32 v2, v27, v0
	v_add_nc_u32_e32 v3, v7, v0
	ds_load_b32 v2, v2 offset:268
	ds_load_b32 v3, v3 offset:268
	s_wait_dscnt 0x1
	global_store_b32 v1, v2, s[12:13] scale_offset
	s_wait_dscnt 0x0
	global_store_b32 v1, v3, s[14:15] scale_offset
.LBB0_88:
	s_wait_xcnt 0x0
	s_or_b32 exec_lo, exec_lo, s0
	s_lshl_b32 s1, s18, 4
	s_delay_alu instid0(SALU_CYCLE_1) | instskip(SKIP_1) | instid1(VALU_DEP_2)
	v_dual_add_nc_u32 v2, 16, v15 :: v_dual_add_nc_u32 v1, s1, v1
	v_cmp_gt_u32_e32 vcc_lo, 0x48, v11
	v_cmp_gt_i32_e64 s0, s19, v2
	s_and_b32 s2, vcc_lo, s0
	s_delay_alu instid0(SALU_CYCLE_1)
	s_and_saveexec_b32 s0, s2
	s_cbranch_execz .LBB0_90
; %bb.89:
	v_add_nc_u32_e32 v2, v27, v0
	v_add_nc_u32_e32 v3, v7, v0
	ds_load_b32 v2, v2 offset:1292
	ds_load_b32 v3, v3 offset:1292
	s_wait_dscnt 0x1
	global_store_b32 v1, v2, s[12:13] scale_offset
	s_wait_dscnt 0x0
	global_store_b32 v1, v3, s[14:15] scale_offset
.LBB0_90:
	s_wait_xcnt 0x0
	s_or_b32 exec_lo, exec_lo, s0
	v_dual_add_nc_u32 v2, 32, v15 :: v_dual_add_nc_u32 v1, s1, v1
	v_cmp_gt_u32_e32 vcc_lo, 56, v11
	s_delay_alu instid0(VALU_DEP_2) | instskip(SKIP_1) | instid1(SALU_CYCLE_1)
	v_cmp_gt_i32_e64 s0, s19, v2
	s_and_b32 s2, vcc_lo, s0
	s_and_saveexec_b32 s0, s2
	s_cbranch_execz .LBB0_92
; %bb.91:
	v_add_nc_u32_e32 v2, v27, v0
	v_add_nc_u32_e32 v3, v7, v0
	ds_load_b32 v2, v2 offset:2316
	ds_load_b32 v3, v3 offset:2316
	s_wait_dscnt 0x1
	global_store_b32 v1, v2, s[12:13] scale_offset
	s_wait_dscnt 0x0
	global_store_b32 v1, v3, s[14:15] scale_offset
.LBB0_92:
	s_wait_xcnt 0x0
	s_or_b32 exec_lo, exec_lo, s0
	v_dual_add_nc_u32 v2, 48, v15 :: v_dual_add_nc_u32 v1, s1, v1
	v_cmp_gt_u32_e32 vcc_lo, 40, v11
	s_delay_alu instid0(VALU_DEP_2) | instskip(SKIP_1) | instid1(SALU_CYCLE_1)
	v_cmp_gt_i32_e64 s0, s19, v2
	s_and_b32 s2, vcc_lo, s0
	s_and_saveexec_b32 s0, s2
	s_cbranch_execz .LBB0_94
; %bb.93:
	v_add_nc_u32_e32 v2, v27, v0
	v_add_nc_u32_e32 v3, v7, v0
	ds_load_b32 v2, v2 offset:3340
	ds_load_b32 v3, v3 offset:3340
	s_wait_dscnt 0x1
	global_store_b32 v1, v2, s[12:13] scale_offset
	s_wait_dscnt 0x0
	global_store_b32 v1, v3, s[14:15] scale_offset
.LBB0_94:
	s_wait_xcnt 0x0
	s_or_b32 exec_lo, exec_lo, s0
	v_dual_add_nc_u32 v2, 64, v15 :: v_dual_add_nc_u32 v1, s1, v1
	v_cmp_gt_u32_e32 vcc_lo, 24, v11
	s_delay_alu instid0(VALU_DEP_2) | instskip(SKIP_1) | instid1(SALU_CYCLE_1)
	v_cmp_gt_i32_e64 s0, s19, v2
	s_and_b32 s2, vcc_lo, s0
	s_and_saveexec_b32 s0, s2
	s_cbranch_execz .LBB0_96
; %bb.95:
	v_add_nc_u32_e32 v2, v27, v0
	v_add_nc_u32_e32 v3, v7, v0
	ds_load_b32 v2, v2 offset:4364
	ds_load_b32 v3, v3 offset:4364
	s_wait_dscnt 0x1
	global_store_b32 v1, v2, s[12:13] scale_offset
	s_wait_dscnt 0x0
	global_store_b32 v1, v3, s[14:15] scale_offset
.LBB0_96:
	s_wait_xcnt 0x0
	s_or_b32 exec_lo, exec_lo, s0
	v_add_nc_u32_e32 v2, 0x50, v15
	v_cmp_gt_u32_e32 vcc_lo, 8, v11
	s_delay_alu instid0(VALU_DEP_2) | instskip(SKIP_1) | instid1(SALU_CYCLE_1)
	v_cmp_gt_i32_e64 s0, s19, v2
	s_and_b32 s0, vcc_lo, s0
	s_and_b32 exec_lo, exec_lo, s0
	s_cbranch_execz .LBB0_98
; %bb.97:
	v_dual_add_nc_u32 v2, v27, v0 :: v_dual_add_nc_u32 v1, s1, v1
	v_add_nc_u32_e32 v0, v7, v0
	ds_load_b32 v2, v2 offset:5388
	ds_load_b32 v0, v0 offset:5388
	s_wait_dscnt 0x1
	global_store_b32 v1, v2, s[12:13] scale_offset
	s_wait_dscnt 0x0
	global_store_b32 v1, v0, s[14:15] scale_offset
.LBB0_98:
	s_endpgm
	.section	.rodata,"a",@progbits
	.p2align	6, 0x0
	.amdhsa_kernel _Z6kernelIfLi1ELi16ELi96ELi3ELi4ELi16EEvT_S0_iiPKS0_S2_PS0_S3_
		.amdhsa_group_segment_fixed_size 12288
		.amdhsa_private_segment_fixed_size 0
		.amdhsa_kernarg_size 48
		.amdhsa_user_sgpr_count 2
		.amdhsa_user_sgpr_dispatch_ptr 0
		.amdhsa_user_sgpr_queue_ptr 0
		.amdhsa_user_sgpr_kernarg_segment_ptr 1
		.amdhsa_user_sgpr_dispatch_id 0
		.amdhsa_user_sgpr_kernarg_preload_length 0
		.amdhsa_user_sgpr_kernarg_preload_offset 0
		.amdhsa_user_sgpr_private_segment_size 0
		.amdhsa_wavefront_size32 1
		.amdhsa_uses_dynamic_stack 0
		.amdhsa_enable_private_segment 0
		.amdhsa_system_sgpr_workgroup_id_x 1
		.amdhsa_system_sgpr_workgroup_id_y 1
		.amdhsa_system_sgpr_workgroup_id_z 0
		.amdhsa_system_sgpr_workgroup_info 0
		.amdhsa_system_vgpr_workitem_id 1
		.amdhsa_next_free_vgpr 52
		.amdhsa_next_free_sgpr 20
		.amdhsa_named_barrier_count 0
		.amdhsa_reserve_vcc 1
		.amdhsa_float_round_mode_32 0
		.amdhsa_float_round_mode_16_64 0
		.amdhsa_float_denorm_mode_32 3
		.amdhsa_float_denorm_mode_16_64 3
		.amdhsa_fp16_overflow 0
		.amdhsa_memory_ordered 1
		.amdhsa_forward_progress 1
		.amdhsa_inst_pref_size 63
		.amdhsa_round_robin_scheduling 0
		.amdhsa_exception_fp_ieee_invalid_op 0
		.amdhsa_exception_fp_denorm_src 0
		.amdhsa_exception_fp_ieee_div_zero 0
		.amdhsa_exception_fp_ieee_overflow 0
		.amdhsa_exception_fp_ieee_underflow 0
		.amdhsa_exception_fp_ieee_inexact 0
		.amdhsa_exception_int_div_zero 0
	.end_amdhsa_kernel
	.section	.text._Z6kernelIfLi1ELi16ELi96ELi3ELi4ELi16EEvT_S0_iiPKS0_S2_PS0_S3_,"axG",@progbits,_Z6kernelIfLi1ELi16ELi96ELi3ELi4ELi16EEvT_S0_iiPKS0_S2_PS0_S3_,comdat
.Lfunc_end0:
	.size	_Z6kernelIfLi1ELi16ELi96ELi3ELi4ELi16EEvT_S0_iiPKS0_S2_PS0_S3_, .Lfunc_end0-_Z6kernelIfLi1ELi16ELi96ELi3ELi4ELi16EEvT_S0_iiPKS0_S2_PS0_S3_
                                        ; -- End function
	.set _Z6kernelIfLi1ELi16ELi96ELi3ELi4ELi16EEvT_S0_iiPKS0_S2_PS0_S3_.num_vgpr, 52
	.set _Z6kernelIfLi1ELi16ELi96ELi3ELi4ELi16EEvT_S0_iiPKS0_S2_PS0_S3_.num_agpr, 0
	.set _Z6kernelIfLi1ELi16ELi96ELi3ELi4ELi16EEvT_S0_iiPKS0_S2_PS0_S3_.numbered_sgpr, 20
	.set _Z6kernelIfLi1ELi16ELi96ELi3ELi4ELi16EEvT_S0_iiPKS0_S2_PS0_S3_.num_named_barrier, 0
	.set _Z6kernelIfLi1ELi16ELi96ELi3ELi4ELi16EEvT_S0_iiPKS0_S2_PS0_S3_.private_seg_size, 0
	.set _Z6kernelIfLi1ELi16ELi96ELi3ELi4ELi16EEvT_S0_iiPKS0_S2_PS0_S3_.uses_vcc, 1
	.set _Z6kernelIfLi1ELi16ELi96ELi3ELi4ELi16EEvT_S0_iiPKS0_S2_PS0_S3_.uses_flat_scratch, 0
	.set _Z6kernelIfLi1ELi16ELi96ELi3ELi4ELi16EEvT_S0_iiPKS0_S2_PS0_S3_.has_dyn_sized_stack, 0
	.set _Z6kernelIfLi1ELi16ELi96ELi3ELi4ELi16EEvT_S0_iiPKS0_S2_PS0_S3_.has_recursion, 0
	.set _Z6kernelIfLi1ELi16ELi96ELi3ELi4ELi16EEvT_S0_iiPKS0_S2_PS0_S3_.has_indirect_call, 0
	.section	.AMDGPU.csdata,"",@progbits
; Kernel info:
; codeLenInByte = 8040
; TotalNumSgprs: 22
; NumVgprs: 52
; ScratchSize: 0
; MemoryBound: 0
; FloatMode: 240
; IeeeMode: 1
; LDSByteSize: 12288 bytes/workgroup (compile time only)
; SGPRBlocks: 0
; VGPRBlocks: 3
; NumSGPRsForWavesPerEU: 22
; NumVGPRsForWavesPerEU: 52
; NamedBarCnt: 0
; Occupancy: 16
; WaveLimiterHint : 0
; COMPUTE_PGM_RSRC2:SCRATCH_EN: 0
; COMPUTE_PGM_RSRC2:USER_SGPR: 2
; COMPUTE_PGM_RSRC2:TRAP_HANDLER: 0
; COMPUTE_PGM_RSRC2:TGID_X_EN: 1
; COMPUTE_PGM_RSRC2:TGID_Y_EN: 1
; COMPUTE_PGM_RSRC2:TGID_Z_EN: 0
; COMPUTE_PGM_RSRC2:TIDIG_COMP_CNT: 1
	.section	.text._Z6kernelIdLi1ELi16ELi32ELi3ELi4ELi16EEvT_S0_iiPKS0_S2_PS0_S3_,"axG",@progbits,_Z6kernelIdLi1ELi16ELi32ELi3ELi4ELi16EEvT_S0_iiPKS0_S2_PS0_S3_,comdat
	.protected	_Z6kernelIdLi1ELi16ELi32ELi3ELi4ELi16EEvT_S0_iiPKS0_S2_PS0_S3_ ; -- Begin function _Z6kernelIdLi1ELi16ELi32ELi3ELi4ELi16EEvT_S0_iiPKS0_S2_PS0_S3_
	.globl	_Z6kernelIdLi1ELi16ELi32ELi3ELi4ELi16EEvT_S0_iiPKS0_S2_PS0_S3_
	.p2align	8
	.type	_Z6kernelIdLi1ELi16ELi32ELi3ELi4ELi16EEvT_S0_iiPKS0_S2_PS0_S3_,@function
_Z6kernelIdLi1ELi16ELi32ELi3ELi4ELi16EEvT_S0_iiPKS0_S2_PS0_S3_: ; @_Z6kernelIdLi1ELi16ELi32ELi3ELi4ELi16EEvT_S0_iiPKS0_S2_PS0_S3_
; %bb.0:
	s_bfe_u32 s2, ttmp6, 0x4000c
	s_bfe_u32 s4, ttmp6, 0x40010
	s_add_co_i32 s2, s2, 1
	s_and_b32 s3, ttmp6, 15
	s_mul_i32 s2, ttmp9, s2
	s_add_co_i32 s4, s4, 1
	s_add_co_i32 s3, s3, s2
	s_mul_i32 s2, ttmp7, s4
	s_bfe_u32 s4, ttmp6, 0x40004
	s_getreg_b32 s5, hwreg(HW_REG_IB_STS2, 6, 4)
	v_and_b32_e32 v8, 0x3ff, v0
	s_add_co_i32 s4, s4, s2
	s_cmp_eq_u32 s5, 0
	s_clause 0x1
	s_load_b64 s[16:17], s[0:1], 0x10
	s_load_b128 s[8:11], s[0:1], 0x28
	s_cselect_b32 s2, ttmp9, s3
	s_cselect_b32 s18, ttmp7, s4
	v_mad_u32 v7, s2, 10, v8
	v_bfe_u32 v5, v0, 10, 10
	s_mul_i32 s18, s18, 24
	s_delay_alu instid0(VALU_DEP_1) | instid1(SALU_CYCLE_1)
	v_dual_lshlrev_b32 v4, 3, v8 :: v_dual_add_nc_u32 v6, s18, v5
	s_delay_alu instid0(VALU_DEP_3) | instskip(NEXT) | instid1(VALU_DEP_1)
	v_add_nc_u32_e32 v11, -3, v7
	v_cmp_lt_i32_e64 s2, -1, v11
	s_wait_kmcnt 0x0
	v_cmp_gt_i32_e32 vcc_lo, s16, v11
	s_and_b32 s3, s2, vcc_lo
	s_delay_alu instid0(SALU_CYCLE_1)
	s_and_saveexec_b32 s5, s3
	s_cbranch_execz .LBB1_5
; %bb.1:
	s_load_b128 s[12:15], s[0:1], 0x18
	v_add_nc_u32_e32 v0, -4, v6
	s_delay_alu instid0(VALU_DEP_1) | instskip(SKIP_4) | instid1(SALU_CYCLE_1)
	v_mad_u32 v1, s16, v0, v11
	v_cmp_lt_i32_e64 s3, -1, v0
	v_cmp_gt_i32_e64 s4, s17, v0
	v_add_nc_u32_e32 v0, 0x1000, v4
	s_and_b32 s4, s3, s4
	s_and_saveexec_b32 s3, s4
	s_cbranch_execz .LBB1_3
; %bb.2:
	s_wait_kmcnt 0x0
	s_clause 0x1
	global_load_b64 v[2:3], v1, s[12:13] scale_offset
	global_load_b64 v[12:13], v1, s[14:15] scale_offset
	v_lshlrev_b32_e32 v9, 7, v5
	s_delay_alu instid0(VALU_DEP_1)
	v_add_nc_u32_e32 v10, v0, v9
	v_add_nc_u32_e32 v9, v4, v9
	s_wait_loadcnt 0x1
	ds_store_b64 v10, v[2:3]
	s_wait_loadcnt 0x0
	ds_store_b64 v9, v[12:13]
.LBB1_3:
	s_or_b32 exec_lo, exec_lo, s3
	v_add_nc_u32_e32 v2, 12, v6
	s_delay_alu instid0(VALU_DEP_1) | instskip(SKIP_2) | instid1(SALU_CYCLE_1)
	v_cmp_lt_i32_e64 s3, -1, v2
	v_cmp_gt_i32_e64 s4, s17, v2
	s_and_b32 s3, s3, s4
	s_and_b32 exec_lo, exec_lo, s3
	s_cbranch_execz .LBB1_5
; %bb.4:
	v_lshl_add_u32 v1, s16, 4, v1
	s_wait_kmcnt 0x0
	s_clause 0x1
	global_load_b64 v[2:3], v1, s[12:13] scale_offset
	global_load_b64 v[12:13], v1, s[14:15] scale_offset
	s_wait_xcnt 0x0
	v_lshlrev_b32_e32 v1, 7, v5
	s_delay_alu instid0(VALU_DEP_1)
	v_add_nc_u32_e32 v0, v0, v1
	v_add_nc_u32_e32 v1, v4, v1
	s_wait_loadcnt 0x1
	ds_store_b64 v0, v[2:3] offset:2048
	s_wait_loadcnt 0x0
	ds_store_b64 v1, v[12:13] offset:2048
.LBB1_5:
	s_or_b32 exec_lo, exec_lo, s5
	v_dual_lshlrev_b32 v0, 1, v5 :: v_dual_bitop2_b32 v12, 1, v8 bitop3:0x40
	s_load_b128 s[4:7], s[0:1], 0x0
	s_wait_dscnt 0x0
	s_barrier_signal -1
	s_delay_alu instid0(VALU_DEP_1)
	v_or_b32_e32 v13, 1, v0
	v_sub_nc_u32_e32 v1, v0, v12
	s_barrier_wait -1
	s_wait_xcnt 0x0
	s_add_co_i32 s1, s17, -1
	v_sub_nc_u32_e32 v14, v13, v12
	v_lshl_add_u32 v9, v1, 7, v4
	s_delay_alu instid0(VALU_DEP_2) | instskip(NEXT) | instid1(VALU_DEP_2)
	v_add3_u32 v15, s18, -4, v14
	v_add_nc_u32_e32 v0, 0x80, v9
	v_cmp_gt_u32_e64 s3, 31, v14
	v_add_nc_u32_e32 v10, 0x1000, v9
	s_delay_alu instid0(VALU_DEP_4)
	v_cmp_lt_i32_e64 s0, -1, v15
	ds_load_2addr_stride64_b64 v[0:3], v0 offset1:8
	v_cmp_gt_i32_e64 s1, s1, v15
	s_and_b32 s0, s0, s1
	s_wait_kmcnt 0x0
	s_and_b32 s12, s0, s3
	s_delay_alu instid0(SALU_CYCLE_1)
	s_and_saveexec_b32 s0, s12
	s_cbranch_execz .LBB1_7
; %bb.6:
	ds_load_b64 v[16:17], v10 offset:256
	ds_load_b64 v[18:19], v9 offset:256
	s_wait_dscnt 0x2
	v_mul_f64_e32 v[22:23], s[6:7], v[0:1]
	s_wait_dscnt 0x1
	v_mul_f64_e32 v[20:21], s[6:7], v[16:17]
	s_wait_dscnt 0x0
	v_mul_f64_e32 v[24:25], s[4:5], v[18:19]
	v_mul_f64_e32 v[18:19], s[6:7], v[18:19]
	s_delay_alu instid0(VALU_DEP_4) | instskip(NEXT) | instid1(VALU_DEP_4)
	v_fma_f64 v[16:17], s[4:5], v[16:17], -v[22:23]
	v_fmac_f64_e32 v[20:21], s[4:5], v[0:1]
	s_delay_alu instid0(VALU_DEP_4) | instskip(NEXT) | instid1(VALU_DEP_4)
	v_fmac_f64_e32 v[24:25], s[6:7], v[2:3]
	v_fma_f64 v[2:3], s[4:5], v[2:3], -v[18:19]
	ds_store_b64 v10, v[16:17] offset:256
	ds_store_b64 v9, v[24:25] offset:256
	v_mov_b64_e32 v[0:1], v[20:21]
.LBB1_7:
	s_or_b32 exec_lo, exec_lo, s0
	s_add_co_i32 s0, s16, -1
	v_cmp_gt_u32_e64 s1, 15, v8
	v_cmp_gt_i32_e64 s0, s0, v11
	s_wait_dscnt 0x0
	s_barrier_signal -1
	s_barrier_wait -1
	s_and_b32 s0, s2, s0
	s_delay_alu instid0(SALU_CYCLE_1) | instskip(NEXT) | instid1(SALU_CYCLE_1)
	s_and_b32 s13, s0, s1
	s_and_saveexec_b32 s0, s13
	s_cbranch_execz .LBB1_9
; %bb.8:
	ds_load_b64 v[16:17], v10 offset:136
	ds_load_b64 v[18:19], v9 offset:136
	v_mul_f64_e32 v[22:23], s[6:7], v[0:1]
	s_wait_dscnt 0x1
	v_mul_f64_e32 v[20:21], s[6:7], v[16:17]
	s_wait_dscnt 0x0
	v_mul_f64_e32 v[24:25], s[4:5], v[18:19]
	v_mul_f64_e32 v[18:19], s[6:7], v[18:19]
	s_delay_alu instid0(VALU_DEP_4) | instskip(NEXT) | instid1(VALU_DEP_4)
	v_fma_f64 v[16:17], s[4:5], v[16:17], -v[22:23]
	v_fmac_f64_e32 v[20:21], s[4:5], v[0:1]
	s_delay_alu instid0(VALU_DEP_4) | instskip(NEXT) | instid1(VALU_DEP_4)
	v_fmac_f64_e32 v[24:25], s[6:7], v[2:3]
	v_fma_f64 v[2:3], s[4:5], v[2:3], -v[18:19]
	ds_store_b64 v10, v[16:17] offset:136
	ds_store_b64 v9, v[24:25] offset:136
	v_mov_b64_e32 v[0:1], v[20:21]
.LBB1_9:
	s_or_b32 exec_lo, exec_lo, s0
	v_cmp_gt_i32_e64 s0, s17, v15
	v_cmp_ne_u32_e64 s1, v13, v12
	v_cmp_lt_i32_e64 s2, 0, v15
	v_cmp_gt_u32_e64 s3, 32, v14
	s_wait_dscnt 0x0
	s_barrier_signal -1
	s_and_b32 s0, s1, s0
	s_barrier_wait -1
	s_and_b32 s0, s2, s0
	s_delay_alu instid0(SALU_CYCLE_1) | instskip(NEXT) | instid1(SALU_CYCLE_1)
	s_and_b32 s3, s0, s3
	s_and_saveexec_b32 s0, s3
	s_cbranch_execz .LBB1_11
; %bb.10:
	ds_load_b64 v[12:13], v10
	ds_load_b64 v[14:15], v9
	v_mul_f64_e32 v[18:19], s[6:7], v[0:1]
	s_wait_dscnt 0x1
	v_mul_f64_e32 v[16:17], s[6:7], v[12:13]
	s_wait_dscnt 0x0
	v_mul_f64_e32 v[20:21], s[4:5], v[14:15]
	v_mul_f64_e32 v[14:15], s[6:7], v[14:15]
	s_delay_alu instid0(VALU_DEP_4) | instskip(NEXT) | instid1(VALU_DEP_4)
	v_fma_f64 v[12:13], s[4:5], v[12:13], -v[18:19]
	v_fmac_f64_e32 v[16:17], s[4:5], v[0:1]
	s_delay_alu instid0(VALU_DEP_4) | instskip(NEXT) | instid1(VALU_DEP_4)
	v_fmac_f64_e32 v[20:21], s[6:7], v[2:3]
	v_fma_f64 v[2:3], s[4:5], v[2:3], -v[14:15]
	ds_store_b64 v10, v[12:13]
	ds_store_b64 v9, v[20:21]
	v_mov_b64_e32 v[0:1], v[16:17]
.LBB1_11:
	s_or_b32 exec_lo, exec_lo, s0
	v_cmp_ne_u32_e64 s0, 0, v8
	v_cmp_lt_i32_e64 s1, 0, v11
	v_cmp_gt_u32_e64 s2, 16, v8
	s_wait_dscnt 0x0
	s_barrier_signal -1
	s_and_b32 s0, s0, vcc_lo
	s_barrier_wait -1
	s_and_b32 s0, s1, s0
	s_delay_alu instid0(SALU_CYCLE_1) | instskip(NEXT) | instid1(SALU_CYCLE_1)
	s_and_b32 s0, s0, s2
	s_and_saveexec_b32 s1, s0
	s_cbranch_execz .LBB1_13
; %bb.12:
	ds_load_b64 v[12:13], v10 offset:120
	ds_load_b64 v[14:15], v9 offset:120
	v_mul_f64_e32 v[18:19], s[6:7], v[0:1]
	s_wait_dscnt 0x1
	v_mul_f64_e32 v[16:17], s[6:7], v[12:13]
	s_wait_dscnt 0x0
	v_mul_f64_e32 v[20:21], s[4:5], v[14:15]
	v_mul_f64_e32 v[14:15], s[6:7], v[14:15]
	s_delay_alu instid0(VALU_DEP_4) | instskip(NEXT) | instid1(VALU_DEP_4)
	v_fma_f64 v[12:13], s[4:5], v[12:13], -v[18:19]
	v_fmac_f64_e32 v[16:17], s[4:5], v[0:1]
	s_delay_alu instid0(VALU_DEP_4) | instskip(NEXT) | instid1(VALU_DEP_4)
	v_fmac_f64_e32 v[20:21], s[6:7], v[2:3]
	v_fma_f64 v[2:3], s[4:5], v[2:3], -v[14:15]
	ds_store_b64 v10, v[12:13] offset:120
	ds_store_b64 v9, v[20:21] offset:120
	v_mov_b64_e32 v[0:1], v[16:17]
.LBB1_13:
	s_or_b32 exec_lo, exec_lo, s1
	s_wait_dscnt 0x0
	s_barrier_signal -1
	s_barrier_wait -1
	s_and_saveexec_b32 s1, s0
	s_cbranch_execz .LBB1_15
; %bb.14:
	ds_load_b64 v[12:13], v10 offset:120
	ds_load_b64 v[14:15], v9 offset:120
	v_mul_f64_e32 v[18:19], s[6:7], v[0:1]
	s_wait_dscnt 0x1
	v_mul_f64_e32 v[16:17], s[6:7], v[12:13]
	s_wait_dscnt 0x0
	v_mul_f64_e32 v[20:21], s[4:5], v[14:15]
	v_mul_f64_e32 v[14:15], s[6:7], v[14:15]
	s_delay_alu instid0(VALU_DEP_4) | instskip(NEXT) | instid1(VALU_DEP_4)
	v_fma_f64 v[12:13], s[4:5], v[12:13], -v[18:19]
	v_fmac_f64_e32 v[16:17], s[4:5], v[0:1]
	s_delay_alu instid0(VALU_DEP_4) | instskip(NEXT) | instid1(VALU_DEP_4)
	v_fmac_f64_e32 v[20:21], s[6:7], v[2:3]
	v_fma_f64 v[2:3], s[4:5], v[2:3], -v[14:15]
	ds_store_b64 v10, v[12:13] offset:120
	ds_store_b64 v9, v[20:21] offset:120
	v_mov_b64_e32 v[0:1], v[16:17]
.LBB1_15:
	s_or_b32 exec_lo, exec_lo, s1
	s_wait_dscnt 0x0
	s_barrier_signal -1
	s_barrier_wait -1
	s_and_saveexec_b32 s0, s3
	s_cbranch_execz .LBB1_17
; %bb.16:
	ds_load_b64 v[12:13], v10
	ds_load_b64 v[14:15], v9
	v_mul_f64_e32 v[18:19], s[6:7], v[0:1]
	s_wait_dscnt 0x1
	v_mul_f64_e32 v[16:17], s[6:7], v[12:13]
	s_wait_dscnt 0x0
	v_mul_f64_e32 v[20:21], s[4:5], v[14:15]
	v_mul_f64_e32 v[14:15], s[6:7], v[14:15]
	s_delay_alu instid0(VALU_DEP_4) | instskip(NEXT) | instid1(VALU_DEP_4)
	v_fma_f64 v[12:13], s[4:5], v[12:13], -v[18:19]
	v_fmac_f64_e32 v[16:17], s[4:5], v[0:1]
	s_delay_alu instid0(VALU_DEP_4) | instskip(NEXT) | instid1(VALU_DEP_4)
	v_fmac_f64_e32 v[20:21], s[6:7], v[2:3]
	v_fma_f64 v[2:3], s[4:5], v[2:3], -v[14:15]
	ds_store_b64 v10, v[12:13]
	ds_store_b64 v9, v[20:21]
	v_mov_b64_e32 v[0:1], v[16:17]
.LBB1_17:
	s_or_b32 exec_lo, exec_lo, s0
	s_wait_dscnt 0x0
	s_barrier_signal -1
	s_barrier_wait -1
	s_and_saveexec_b32 s0, s13
	s_cbranch_execz .LBB1_19
; %bb.18:
	ds_load_b64 v[12:13], v10 offset:136
	ds_load_b64 v[14:15], v9 offset:136
	v_mul_f64_e32 v[18:19], s[6:7], v[0:1]
	s_wait_dscnt 0x1
	v_mul_f64_e32 v[16:17], s[6:7], v[12:13]
	s_wait_dscnt 0x0
	v_mul_f64_e32 v[20:21], s[4:5], v[14:15]
	v_mul_f64_e32 v[14:15], s[6:7], v[14:15]
	s_delay_alu instid0(VALU_DEP_4) | instskip(NEXT) | instid1(VALU_DEP_4)
	v_fma_f64 v[12:13], s[4:5], v[12:13], -v[18:19]
	v_fmac_f64_e32 v[16:17], s[4:5], v[0:1]
	s_delay_alu instid0(VALU_DEP_4) | instskip(NEXT) | instid1(VALU_DEP_4)
	v_fmac_f64_e32 v[20:21], s[6:7], v[2:3]
	v_fma_f64 v[2:3], s[4:5], v[2:3], -v[14:15]
	ds_store_b64 v10, v[12:13] offset:136
	ds_store_b64 v9, v[20:21] offset:136
	v_mov_b64_e32 v[0:1], v[16:17]
.LBB1_19:
	s_or_b32 exec_lo, exec_lo, s0
	s_wait_dscnt 0x0
	s_barrier_signal -1
	s_barrier_wait -1
	s_and_saveexec_b32 s0, s12
	s_cbranch_execz .LBB1_21
; %bb.20:
	ds_load_b64 v[12:13], v10 offset:256
	ds_load_b64 v[14:15], v9 offset:256
	v_mul_f64_e32 v[18:19], s[6:7], v[0:1]
	s_wait_dscnt 0x1
	v_mul_f64_e32 v[16:17], s[6:7], v[12:13]
	s_wait_dscnt 0x0
	v_mul_f64_e32 v[20:21], s[4:5], v[14:15]
	v_mul_f64_e32 v[14:15], s[6:7], v[14:15]
	s_delay_alu instid0(VALU_DEP_4) | instskip(NEXT) | instid1(VALU_DEP_4)
	v_fma_f64 v[12:13], s[4:5], v[12:13], -v[18:19]
	v_fmac_f64_e32 v[16:17], s[4:5], v[0:1]
	s_delay_alu instid0(VALU_DEP_4) | instskip(NEXT) | instid1(VALU_DEP_4)
	v_fmac_f64_e32 v[20:21], s[6:7], v[2:3]
	v_fma_f64 v[2:3], s[4:5], v[2:3], -v[14:15]
	ds_store_b64 v10, v[12:13] offset:256
	ds_store_b64 v9, v[20:21] offset:256
	v_mov_b64_e32 v[0:1], v[16:17]
.LBB1_21:
	s_or_b32 exec_lo, exec_lo, s0
	v_cmp_gt_u32_e32 vcc_lo, 10, v8
	v_cmp_gt_i32_e64 s0, s16, v7
	s_wait_dscnt 0x0
	s_barrier_signal -1
	s_barrier_wait -1
	s_and_b32 s0, vcc_lo, s0
	ds_store_b64 v10, v[2:3] offset:128
	ds_store_b64 v9, v[0:1] offset:128
	s_wait_dscnt 0x0
	s_barrier_signal -1
	s_barrier_wait -1
	s_and_saveexec_b32 s1, s0
	s_cbranch_execz .LBB1_26
; %bb.22:
	v_mad_u32 v0, s16, v6, v7
	v_cmp_gt_u32_e32 vcc_lo, 24, v5
	v_cmp_gt_i32_e64 s0, s17, v6
	v_add_nc_u32_e32 v1, 0x1000, v4
	v_lshlrev_b32_e32 v2, 7, v5
	s_and_b32 s1, vcc_lo, s0
	s_delay_alu instid0(SALU_CYCLE_1)
	s_and_saveexec_b32 s0, s1
	s_cbranch_execz .LBB1_24
; %bb.23:
	s_delay_alu instid0(VALU_DEP_1)
	v_dual_add_nc_u32 v3, v1, v2 :: v_dual_add_nc_u32 v7, v4, v2
	ds_load_b64 v[8:9], v3 offset:536
	ds_load_b64 v[10:11], v7 offset:536
	s_wait_dscnt 0x1
	global_store_b64 v0, v[8:9], s[8:9] scale_offset
	s_wait_dscnt 0x0
	global_store_b64 v0, v[10:11], s[10:11] scale_offset
.LBB1_24:
	s_wait_xcnt 0x0
	s_or_b32 exec_lo, exec_lo, s0
	v_add_nc_u32_e32 v3, 16, v6
	v_cmp_gt_u32_e32 vcc_lo, 8, v5
	s_delay_alu instid0(VALU_DEP_2) | instskip(SKIP_1) | instid1(SALU_CYCLE_1)
	v_cmp_gt_i32_e64 s0, s17, v3
	s_and_b32 s0, vcc_lo, s0
	s_and_b32 exec_lo, exec_lo, s0
	s_cbranch_execz .LBB1_26
; %bb.25:
	v_dual_add_nc_u32 v1, v1, v2 :: v_dual_add_nc_u32 v4, v4, v2
	v_lshl_add_u32 v0, s16, 4, v0
	ds_load_b64 v[2:3], v1 offset:2584
	ds_load_b64 v[4:5], v4 offset:2584
	s_wait_dscnt 0x1
	global_store_b64 v0, v[2:3], s[8:9] scale_offset
	s_wait_dscnt 0x0
	global_store_b64 v0, v[4:5], s[10:11] scale_offset
.LBB1_26:
	s_endpgm
	.section	.rodata,"a",@progbits
	.p2align	6, 0x0
	.amdhsa_kernel _Z6kernelIdLi1ELi16ELi32ELi3ELi4ELi16EEvT_S0_iiPKS0_S2_PS0_S3_
		.amdhsa_group_segment_fixed_size 8192
		.amdhsa_private_segment_fixed_size 0
		.amdhsa_kernarg_size 56
		.amdhsa_user_sgpr_count 2
		.amdhsa_user_sgpr_dispatch_ptr 0
		.amdhsa_user_sgpr_queue_ptr 0
		.amdhsa_user_sgpr_kernarg_segment_ptr 1
		.amdhsa_user_sgpr_dispatch_id 0
		.amdhsa_user_sgpr_kernarg_preload_length 0
		.amdhsa_user_sgpr_kernarg_preload_offset 0
		.amdhsa_user_sgpr_private_segment_size 0
		.amdhsa_wavefront_size32 1
		.amdhsa_uses_dynamic_stack 0
		.amdhsa_enable_private_segment 0
		.amdhsa_system_sgpr_workgroup_id_x 1
		.amdhsa_system_sgpr_workgroup_id_y 1
		.amdhsa_system_sgpr_workgroup_id_z 0
		.amdhsa_system_sgpr_workgroup_info 0
		.amdhsa_system_vgpr_workitem_id 1
		.amdhsa_next_free_vgpr 26
		.amdhsa_next_free_sgpr 19
		.amdhsa_named_barrier_count 0
		.amdhsa_reserve_vcc 1
		.amdhsa_float_round_mode_32 0
		.amdhsa_float_round_mode_16_64 0
		.amdhsa_float_denorm_mode_32 3
		.amdhsa_float_denorm_mode_16_64 3
		.amdhsa_fp16_overflow 0
		.amdhsa_memory_ordered 1
		.amdhsa_forward_progress 1
		.amdhsa_inst_pref_size 15
		.amdhsa_round_robin_scheduling 0
		.amdhsa_exception_fp_ieee_invalid_op 0
		.amdhsa_exception_fp_denorm_src 0
		.amdhsa_exception_fp_ieee_div_zero 0
		.amdhsa_exception_fp_ieee_overflow 0
		.amdhsa_exception_fp_ieee_underflow 0
		.amdhsa_exception_fp_ieee_inexact 0
		.amdhsa_exception_int_div_zero 0
	.end_amdhsa_kernel
	.section	.text._Z6kernelIdLi1ELi16ELi32ELi3ELi4ELi16EEvT_S0_iiPKS0_S2_PS0_S3_,"axG",@progbits,_Z6kernelIdLi1ELi16ELi32ELi3ELi4ELi16EEvT_S0_iiPKS0_S2_PS0_S3_,comdat
.Lfunc_end1:
	.size	_Z6kernelIdLi1ELi16ELi32ELi3ELi4ELi16EEvT_S0_iiPKS0_S2_PS0_S3_, .Lfunc_end1-_Z6kernelIdLi1ELi16ELi32ELi3ELi4ELi16EEvT_S0_iiPKS0_S2_PS0_S3_
                                        ; -- End function
	.set _Z6kernelIdLi1ELi16ELi32ELi3ELi4ELi16EEvT_S0_iiPKS0_S2_PS0_S3_.num_vgpr, 26
	.set _Z6kernelIdLi1ELi16ELi32ELi3ELi4ELi16EEvT_S0_iiPKS0_S2_PS0_S3_.num_agpr, 0
	.set _Z6kernelIdLi1ELi16ELi32ELi3ELi4ELi16EEvT_S0_iiPKS0_S2_PS0_S3_.numbered_sgpr, 19
	.set _Z6kernelIdLi1ELi16ELi32ELi3ELi4ELi16EEvT_S0_iiPKS0_S2_PS0_S3_.num_named_barrier, 0
	.set _Z6kernelIdLi1ELi16ELi32ELi3ELi4ELi16EEvT_S0_iiPKS0_S2_PS0_S3_.private_seg_size, 0
	.set _Z6kernelIdLi1ELi16ELi32ELi3ELi4ELi16EEvT_S0_iiPKS0_S2_PS0_S3_.uses_vcc, 1
	.set _Z6kernelIdLi1ELi16ELi32ELi3ELi4ELi16EEvT_S0_iiPKS0_S2_PS0_S3_.uses_flat_scratch, 0
	.set _Z6kernelIdLi1ELi16ELi32ELi3ELi4ELi16EEvT_S0_iiPKS0_S2_PS0_S3_.has_dyn_sized_stack, 0
	.set _Z6kernelIdLi1ELi16ELi32ELi3ELi4ELi16EEvT_S0_iiPKS0_S2_PS0_S3_.has_recursion, 0
	.set _Z6kernelIdLi1ELi16ELi32ELi3ELi4ELi16EEvT_S0_iiPKS0_S2_PS0_S3_.has_indirect_call, 0
	.section	.AMDGPU.csdata,"",@progbits
; Kernel info:
; codeLenInByte = 1904
; TotalNumSgprs: 21
; NumVgprs: 26
; ScratchSize: 0
; MemoryBound: 0
; FloatMode: 240
; IeeeMode: 1
; LDSByteSize: 8192 bytes/workgroup (compile time only)
; SGPRBlocks: 0
; VGPRBlocks: 1
; NumSGPRsForWavesPerEU: 21
; NumVGPRsForWavesPerEU: 26
; NamedBarCnt: 0
; Occupancy: 16
; WaveLimiterHint : 0
; COMPUTE_PGM_RSRC2:SCRATCH_EN: 0
; COMPUTE_PGM_RSRC2:USER_SGPR: 2
; COMPUTE_PGM_RSRC2:TRAP_HANDLER: 0
; COMPUTE_PGM_RSRC2:TGID_X_EN: 1
; COMPUTE_PGM_RSRC2:TGID_Y_EN: 1
; COMPUTE_PGM_RSRC2:TGID_Z_EN: 0
; COMPUTE_PGM_RSRC2:TIDIG_COMP_CNT: 1
	.section	.AMDGPU.gpr_maximums,"",@progbits
	.set amdgpu.max_num_vgpr, 0
	.set amdgpu.max_num_agpr, 0
	.set amdgpu.max_num_sgpr, 0
	.section	.AMDGPU.csdata,"",@progbits
	.type	__hip_cuid_c890a27d74ee1d74,@object ; @__hip_cuid_c890a27d74ee1d74
	.section	.bss,"aw",@nobits
	.globl	__hip_cuid_c890a27d74ee1d74
__hip_cuid_c890a27d74ee1d74:
	.byte	0                               ; 0x0
	.size	__hip_cuid_c890a27d74ee1d74, 1

	.ident	"AMD clang version 22.0.0git (https://github.com/RadeonOpenCompute/llvm-project roc-7.2.4 26084 f58b06dce1f9c15707c5f808fd002e18c2accf7e)"
	.section	".note.GNU-stack","",@progbits
	.addrsig
	.addrsig_sym __hip_cuid_c890a27d74ee1d74
	.amdgpu_metadata
---
amdhsa.kernels:
  - .args:
      - .offset:         0
        .size:           4
        .value_kind:     by_value
      - .offset:         4
        .size:           4
        .value_kind:     by_value
      - .offset:         8
        .size:           4
        .value_kind:     by_value
      - .offset:         12
        .size:           4
        .value_kind:     by_value
      - .actual_access:  read_only
        .address_space:  global
        .offset:         16
        .size:           8
        .value_kind:     global_buffer
      - .actual_access:  read_only
        .address_space:  global
        .offset:         24
        .size:           8
        .value_kind:     global_buffer
      - .actual_access:  write_only
        .address_space:  global
        .offset:         32
        .size:           8
        .value_kind:     global_buffer
      - .actual_access:  write_only
        .address_space:  global
        .offset:         40
        .size:           8
        .value_kind:     global_buffer
    .group_segment_fixed_size: 12288
    .kernarg_segment_align: 8
    .kernarg_segment_size: 48
    .language:       OpenCL C
    .language_version:
      - 2
      - 0
    .max_flat_workgroup_size: 1024
    .name:           _Z6kernelIfLi1ELi16ELi96ELi3ELi4ELi16EEvT_S0_iiPKS0_S2_PS0_S3_
    .private_segment_fixed_size: 0
    .sgpr_count:     22
    .sgpr_spill_count: 0
    .symbol:         _Z6kernelIfLi1ELi16ELi96ELi3ELi4ELi16EEvT_S0_iiPKS0_S2_PS0_S3_.kd
    .uniform_work_group_size: 1
    .uses_dynamic_stack: false
    .vgpr_count:     52
    .vgpr_spill_count: 0
    .wavefront_size: 32
  - .args:
      - .offset:         0
        .size:           8
        .value_kind:     by_value
      - .offset:         8
        .size:           8
        .value_kind:     by_value
      - .offset:         16
        .size:           4
        .value_kind:     by_value
      - .offset:         20
        .size:           4
        .value_kind:     by_value
      - .actual_access:  read_only
        .address_space:  global
        .offset:         24
        .size:           8
        .value_kind:     global_buffer
      - .actual_access:  read_only
        .address_space:  global
        .offset:         32
        .size:           8
        .value_kind:     global_buffer
      - .actual_access:  write_only
        .address_space:  global
        .offset:         40
        .size:           8
        .value_kind:     global_buffer
      - .actual_access:  write_only
        .address_space:  global
        .offset:         48
        .size:           8
        .value_kind:     global_buffer
    .group_segment_fixed_size: 8192
    .kernarg_segment_align: 8
    .kernarg_segment_size: 56
    .language:       OpenCL C
    .language_version:
      - 2
      - 0
    .max_flat_workgroup_size: 1024
    .name:           _Z6kernelIdLi1ELi16ELi32ELi3ELi4ELi16EEvT_S0_iiPKS0_S2_PS0_S3_
    .private_segment_fixed_size: 0
    .sgpr_count:     21
    .sgpr_spill_count: 0
    .symbol:         _Z6kernelIdLi1ELi16ELi32ELi3ELi4ELi16EEvT_S0_iiPKS0_S2_PS0_S3_.kd
    .uniform_work_group_size: 1
    .uses_dynamic_stack: false
    .vgpr_count:     26
    .vgpr_spill_count: 0
    .wavefront_size: 32
amdhsa.target:   amdgcn-amd-amdhsa--gfx1250
amdhsa.version:
  - 1
  - 2
...

	.end_amdgpu_metadata
